;; amdgpu-corpus repo=ROCm/rocFFT kind=compiled arch=gfx1100 opt=O3
	.text
	.amdgcn_target "amdgcn-amd-amdhsa--gfx1100"
	.amdhsa_code_object_version 6
	.protected	bluestein_single_back_len833_dim1_dp_op_CI_CI ; -- Begin function bluestein_single_back_len833_dim1_dp_op_CI_CI
	.globl	bluestein_single_back_len833_dim1_dp_op_CI_CI
	.p2align	8
	.type	bluestein_single_back_len833_dim1_dp_op_CI_CI,@function
bluestein_single_back_len833_dim1_dp_op_CI_CI: ; @bluestein_single_back_len833_dim1_dp_op_CI_CI
; %bb.0:
	s_load_b128 s[4:7], s[0:1], 0x28
	v_mul_u32_u24_e32 v1, 0x227, v0
	s_mov_b32 s2, exec_lo
	v_mov_b32_e32 v4, 0
	s_delay_alu instid0(VALU_DEP_2) | instskip(NEXT) | instid1(VALU_DEP_1)
	v_lshrrev_b32_e32 v1, 16, v1
	v_add_nc_u32_e32 v3, s15, v1
	s_delay_alu instid0(VALU_DEP_1)
	v_mov_b32_e32 v2, v3
	scratch_store_b64 off, v[2:3], off      ; 8-byte Folded Spill
	s_waitcnt lgkmcnt(0)
	v_cmpx_gt_u64_e64 s[4:5], v[3:4]
	s_cbranch_execz .LBB0_15
; %bb.1:
	s_clause 0x1
	s_load_b64 s[12:13], s[0:1], 0x0
	s_load_b64 s[14:15], s[0:1], 0x38
	v_mul_lo_u16 v1, 0x77, v1
	s_delay_alu instid0(VALU_DEP_1) | instskip(NEXT) | instid1(VALU_DEP_1)
	v_sub_nc_u16 v0, v0, v1
	v_and_b32_e32 v217, 0xffff, v0
	v_cmp_gt_u16_e32 vcc_lo, 49, v0
	s_delay_alu instid0(VALU_DEP_2)
	v_lshlrev_b32_e32 v236, 4, v217
	s_and_saveexec_b32 s3, vcc_lo
	s_cbranch_execz .LBB0_3
; %bb.2:
	s_load_b64 s[4:5], s[0:1], 0x18
	s_waitcnt lgkmcnt(0)
	v_add_co_u32 v27, s2, s12, v236
	s_delay_alu instid0(VALU_DEP_1) | instskip(NEXT) | instid1(VALU_DEP_2)
	v_add_co_ci_u32_e64 v28, null, s13, 0, s2
	v_add_co_u32 v42, s2, 0x1000, v27
	s_delay_alu instid0(VALU_DEP_1) | instskip(SKIP_1) | instid1(VALU_DEP_1)
	v_add_co_ci_u32_e64 v43, s2, 0, v28, s2
	v_add_co_u32 v120, s2, 0x2000, v27
	v_add_co_ci_u32_e64 v121, s2, 0, v28, s2
	v_add_co_u32 v129, s2, 0x3000, v27
	s_delay_alu instid0(VALU_DEP_1)
	v_add_co_ci_u32_e64 v130, s2, 0, v28, s2
	s_load_b128 s[8:11], s[4:5], 0x0
	global_load_b128 v[0:3], v236, s[12:13]
	scratch_load_b64 v[4:5], off, off       ; 8-byte Folded Reload
	s_waitcnt lgkmcnt(0)
	v_mad_u64_u32 v[40:41], null, s8, v217, 0
	s_mul_i32 s4, s9, 0x310
	s_mul_hi_u32 s5, s8, 0x310
	s_delay_alu instid0(SALU_CYCLE_1)
	s_add_i32 s5, s5, s4
	s_waitcnt vmcnt(0)
	v_mov_b32_e32 v29, v4
	s_clause 0x4
	global_load_b128 v[4:7], v236, s[12:13] offset:784
	global_load_b128 v[8:11], v236, s[12:13] offset:1568
	;; [unrolled: 1-line block ×5, first 2 shown]
	v_mad_u64_u32 v[32:33], null, s10, v29, 0
	s_delay_alu instid0(VALU_DEP_1) | instskip(NEXT) | instid1(VALU_DEP_1)
	v_mov_b32_e32 v24, v33
	v_mad_u64_u32 v[25:26], null, s11, v29, v[24:25]
	v_mov_b32_e32 v24, v41
	s_delay_alu instid0(VALU_DEP_1)
	v_mad_u64_u32 v[34:35], null, s9, v217, v[24:25]
	v_mov_b32_e32 v33, v25
	s_clause 0x1
	global_load_b128 v[24:27], v[42:43], off offset:608
	global_load_b128 v[28:31], v[42:43], off offset:1392
	v_lshlrev_b64 v[44:45], 4, v[32:33]
	v_mov_b32_e32 v41, v34
	s_clause 0x1
	global_load_b128 v[32:35], v[42:43], off offset:2176
	global_load_b128 v[36:39], v[42:43], off offset:2960
	v_add_co_u32 v44, s2, s6, v44
	v_lshlrev_b64 v[40:41], 4, v[40:41]
	v_add_co_ci_u32_e64 v45, s2, s7, v45, s2
	s_mul_i32 s6, s8, 0x310
	s_delay_alu instid0(VALU_DEP_2) | instskip(NEXT) | instid1(VALU_DEP_1)
	v_add_co_u32 v60, s2, v44, v40
	v_add_co_ci_u32_e64 v61, s2, v45, v41, s2
	global_load_b128 v[40:43], v[42:43], off offset:3744
	v_add_co_u32 v64, s2, v60, s6
	s_delay_alu instid0(VALU_DEP_1) | instskip(SKIP_4) | instid1(VALU_DEP_1)
	v_add_co_ci_u32_e64 v65, s2, s5, v61, s2
	s_clause 0x1
	global_load_b128 v[44:47], v[120:121], off offset:432
	global_load_b128 v[48:51], v[120:121], off offset:1216
	v_add_co_u32 v68, s2, v64, s6
	v_add_co_ci_u32_e64 v69, s2, s5, v65, s2
	s_clause 0x1
	global_load_b128 v[52:55], v[120:121], off offset:2000
	global_load_b128 v[56:59], v[120:121], off offset:2784
	v_add_co_u32 v72, s2, v68, s6
	s_delay_alu instid0(VALU_DEP_1) | instskip(SKIP_4) | instid1(VALU_DEP_1)
	v_add_co_ci_u32_e64 v73, s2, s5, v69, s2
	s_clause 0x1
	global_load_b128 v[60:63], v[60:61], off
	global_load_b128 v[64:67], v[64:65], off
	v_add_co_u32 v76, s2, v72, s6
	v_add_co_ci_u32_e64 v77, s2, s5, v73, s2
	s_clause 0x1
	global_load_b128 v[68:71], v[68:69], off
	global_load_b128 v[72:75], v[72:73], off
	v_add_co_u32 v80, s2, v76, s6
	s_delay_alu instid0(VALU_DEP_1) | instskip(SKIP_2) | instid1(VALU_DEP_1)
	v_add_co_ci_u32_e64 v81, s2, s5, v77, s2
	global_load_b128 v[76:79], v[76:77], off
	v_add_co_u32 v84, s2, v80, s6
	v_add_co_ci_u32_e64 v85, s2, s5, v81, s2
	global_load_b128 v[80:83], v[80:81], off
	v_add_co_u32 v88, s2, v84, s6
	s_delay_alu instid0(VALU_DEP_1) | instskip(SKIP_2) | instid1(VALU_DEP_1)
	v_add_co_ci_u32_e64 v89, s2, s5, v85, s2
	global_load_b128 v[84:87], v[84:85], off
	v_add_co_u32 v92, s2, v88, s6
	v_add_co_ci_u32_e64 v93, s2, s5, v89, s2
	global_load_b128 v[88:91], v[88:89], off
	v_add_co_u32 v96, s2, v92, s6
	s_delay_alu instid0(VALU_DEP_1) | instskip(SKIP_2) | instid1(VALU_DEP_1)
	v_add_co_ci_u32_e64 v97, s2, s5, v93, s2
	global_load_b128 v[92:95], v[92:93], off
	v_add_co_u32 v100, s2, v96, s6
	v_add_co_ci_u32_e64 v101, s2, s5, v97, s2
	global_load_b128 v[96:99], v[96:97], off
	v_add_co_u32 v104, s2, v100, s6
	s_delay_alu instid0(VALU_DEP_1) | instskip(SKIP_2) | instid1(VALU_DEP_1)
	v_add_co_ci_u32_e64 v105, s2, s5, v101, s2
	global_load_b128 v[100:103], v[100:101], off
	v_add_co_u32 v108, s2, v104, s6
	v_add_co_ci_u32_e64 v109, s2, s5, v105, s2
	global_load_b128 v[104:107], v[104:105], off
	v_add_co_u32 v112, s2, v108, s6
	s_delay_alu instid0(VALU_DEP_1) | instskip(SKIP_2) | instid1(VALU_DEP_1)
	v_add_co_ci_u32_e64 v113, s2, s5, v109, s2
	global_load_b128 v[108:111], v[108:109], off
	v_add_co_u32 v116, s2, v112, s6
	v_add_co_ci_u32_e64 v117, s2, s5, v113, s2
	global_load_b128 v[112:115], v[112:113], off
	v_add_co_u32 v124, s2, v116, s6
	s_delay_alu instid0(VALU_DEP_1) | instskip(NEXT) | instid1(VALU_DEP_2)
	v_add_co_ci_u32_e64 v125, s2, s5, v117, s2
	v_add_co_u32 v133, s2, v124, s6
	s_delay_alu instid0(VALU_DEP_1)
	v_add_co_ci_u32_e64 v134, s2, s5, v125, s2
	global_load_b128 v[116:119], v[116:117], off
	global_load_b128 v[120:123], v[120:121], off offset:3568
	global_load_b128 v[124:127], v[124:125], off
	global_load_b128 v[129:132], v[129:130], off offset:256
	global_load_b128 v[133:136], v[133:134], off
	s_waitcnt vmcnt(18)
	v_mul_f64 v[137:138], v[62:63], v[2:3]
	v_mul_f64 v[2:3], v[60:61], v[2:3]
	s_waitcnt vmcnt(17)
	v_mul_f64 v[139:140], v[66:67], v[6:7]
	v_mul_f64 v[6:7], v[64:65], v[6:7]
	;; [unrolled: 3-line block ×17, first 2 shown]
	v_fma_f64 v[58:59], v[60:61], v[0:1], v[137:138]
	v_fma_f64 v[60:61], v[62:63], v[0:1], -v[2:3]
	v_fma_f64 v[0:1], v[64:65], v[4:5], v[139:140]
	v_fma_f64 v[2:3], v[66:67], v[4:5], -v[6:7]
	;; [unrolled: 2-line block ×17, first 2 shown]
	ds_store_b128 v236, v[58:61]
	ds_store_b128 v236, v[0:3] offset:784
	ds_store_b128 v236, v[4:7] offset:1568
	;; [unrolled: 1-line block ×16, first 2 shown]
.LBB0_3:
	s_or_b32 exec_lo, exec_lo, s3
	s_clause 0x1
	s_load_b64 s[2:3], s[0:1], 0x20
	s_load_b64 s[0:1], s[0:1], 0x8
	s_waitcnt lgkmcnt(0)
	s_waitcnt_vscnt null, 0x0
	s_barrier
	buffer_gl0_inv
                                        ; implicit-def: $vgpr36_vgpr37
                                        ; implicit-def: $vgpr68_vgpr69
                                        ; implicit-def: $vgpr72_vgpr73
                                        ; implicit-def: $vgpr76_vgpr77
                                        ; implicit-def: $vgpr80_vgpr81
                                        ; implicit-def: $vgpr84_vgpr85
                                        ; implicit-def: $vgpr88_vgpr89
                                        ; implicit-def: $vgpr96_vgpr97
                                        ; implicit-def: $vgpr100_vgpr101
                                        ; implicit-def: $vgpr104_vgpr105
                                        ; implicit-def: $vgpr92_vgpr93
                                        ; implicit-def: $vgpr64_vgpr65
                                        ; implicit-def: $vgpr56_vgpr57
                                        ; implicit-def: $vgpr52_vgpr53
                                        ; implicit-def: $vgpr48_vgpr49
                                        ; implicit-def: $vgpr44_vgpr45
                                        ; implicit-def: $vgpr40_vgpr41
	s_and_saveexec_b32 s4, vcc_lo
	s_cbranch_execz .LBB0_5
; %bb.4:
	ds_load_b128 v[36:39], v236
	ds_load_b128 v[68:71], v236 offset:784
	ds_load_b128 v[72:75], v236 offset:1568
	;; [unrolled: 1-line block ×16, first 2 shown]
.LBB0_5:
	s_or_b32 exec_lo, exec_lo, s4
	s_waitcnt lgkmcnt(0)
	v_add_f64 v[2:3], v[70:71], -v[42:43]
	s_mov_b32 s38, 0x5d8e7cdc
	s_mov_b32 s39, 0xbfd71e95
	v_add_f64 v[112:113], v[68:69], v[40:41]
	v_add_f64 v[0:1], v[68:69], -v[40:41]
	v_add_f64 v[118:119], v[74:75], -v[46:47]
	s_mov_b32 s4, 0x370991
	s_mov_b32 s46, 0x2a9d6da3
	;; [unrolled: 1-line block ×4, first 2 shown]
	v_add_f64 v[114:115], v[70:71], v[42:43]
	v_add_f64 v[108:109], v[72:73], v[44:45]
	v_add_f64 v[116:117], v[72:73], -v[44:45]
	s_mov_b32 s6, 0x75d4884
	s_mov_b32 s7, 0x3fe7a5f6
	v_add_f64 v[110:111], v[74:75], v[46:47]
	s_mov_b32 s42, 0xeb564b22
	s_mov_b32 s43, 0xbfefdd0d
	;; [unrolled: 1-line block ×22, first 2 shown]
	v_mul_f64 v[4:5], v[2:3], s[38:39]
	v_mul_f64 v[8:9], v[2:3], s[46:47]
	;; [unrolled: 1-line block ×10, first 2 shown]
	s_mov_b32 s51, 0x3fe0d888
	s_mov_b32 s50, s30
	v_mul_f64 v[122:123], v[116:117], s[46:47]
	v_mul_f64 v[22:23], v[0:1], s[24:25]
	s_mov_b32 s20, 0x910ea3b9
	s_mov_b32 s21, 0xbfeb34fa
	v_mul_f64 v[24:25], v[2:3], s[26:27]
	s_mov_b32 s49, 0x3feec746
	s_mov_b32 s48, s24
	v_mul_f64 v[26:27], v[0:1], s[26:27]
	v_mul_f64 v[28:29], v[2:3], s[30:31]
	s_mov_b32 s29, 0x3feca52d
	s_mov_b32 s28, s36
	v_mul_f64 v[32:33], v[0:1], s[30:31]
	;; [unrolled: 4-line block ×3, first 2 shown]
	v_add_f64 v[145:146], v[76:77], v[48:49]
	v_add_f64 v[149:150], v[78:79], v[50:51]
	s_mov_b32 s41, 0x3fc7851a
	s_mov_b32 s40, s34
	v_add_f64 v[173:174], v[80:81], v[52:53]
	v_add_f64 v[177:178], v[82:83], v[54:55]
	s_mov_b32 s53, 0x3fe9895b
	s_mov_b32 s52, s26
	v_add_f64 v[201:202], v[84:85], v[56:57]
	v_add_f64 v[203:204], v[86:87], v[58:59]
	scratch_store_b64 off, v[4:5], off offset:8 ; 8-byte Folded Spill
	v_fma_f64 v[4:5], v[112:113], s[4:5], v[4:5]
	scratch_store_b64 off, v[8:9], off offset:32 ; 8-byte Folded Spill
	v_fma_f64 v[8:9], v[112:113], s[6:7], v[8:9]
	scratch_store_b64 off, v[6:7], off offset:16 ; 8-byte Folded Spill
	v_fma_f64 v[6:7], v[114:115], s[4:5], -v[6:7]
	scratch_store_b64 off, v[120:121], off offset:144 ; 8-byte Folded Spill
	v_fma_f64 v[120:121], v[108:109], s[6:7], v[120:121]
	scratch_store_b64 off, v[10:11], off offset:48 ; 8-byte Folded Spill
	v_fma_f64 v[10:11], v[114:115], s[6:7], -v[10:11]
	s_clause 0x3
	scratch_store_b64 off, v[12:13], off offset:64
	scratch_store_b64 off, v[14:15], off offset:80
	;; [unrolled: 1-line block ×4, first 2 shown]
	v_fma_f64 v[12:13], v[112:113], s[8:9], v[12:13]
	v_fma_f64 v[14:15], v[114:115], s[8:9], -v[14:15]
	v_fma_f64 v[16:17], v[112:113], s[10:11], v[16:17]
	v_fma_f64 v[18:19], v[114:115], s[10:11], -v[18:19]
	s_clause 0x3
	scratch_store_b64 off, v[20:21], off offset:104
	scratch_store_b64 off, v[22:23], off offset:112
	scratch_store_b64 off, v[24:25], off offset:128
	scratch_store_b64 off, v[26:27], off offset:136
	v_fma_f64 v[20:21], v[112:113], s[16:17], v[20:21]
	v_fma_f64 v[22:23], v[114:115], s[16:17], -v[22:23]
	v_fma_f64 v[24:25], v[112:113], s[18:19], v[24:25]
	v_fma_f64 v[26:27], v[114:115], s[18:19], -v[26:27]
	v_fma_f64 v[30:31], v[112:113], s[20:21], -v[28:29]
	v_fma_f64 v[28:29], v[112:113], s[20:21], v[28:29]
	v_fma_f64 v[34:35], v[114:115], s[20:21], v[32:33]
	v_fma_f64 v[32:33], v[114:115], s[20:21], -v[32:33]
	v_fma_f64 v[60:61], v[112:113], s[22:23], -v[2:3]
	v_fma_f64 v[2:3], v[112:113], s[22:23], v[2:3]
	v_fma_f64 v[62:63], v[114:115], s[22:23], v[0:1]
	v_fma_f64 v[0:1], v[114:115], s[22:23], -v[0:1]
	v_add_f64 v[229:230], v[88:89], v[64:65]
	v_add_f64 v[231:232], v[90:91], v[66:67]
	v_add_f64 v[153:154], v[98:99], -v[94:95]
	v_add_f64 v[209:210], v[102:103], -v[106:107]
	;; [unrolled: 1-line block ×3, first 2 shown]
	v_add_f64 v[4:5], v[36:37], v[4:5]
	v_add_f64 v[8:9], v[36:37], v[8:9]
	;; [unrolled: 1-line block ×20, first 2 shown]
	v_mul_f64 v[167:168], v[153:154], s[28:29]
	v_mul_f64 v[163:164], v[153:154], s[42:43]
	;; [unrolled: 1-line block ×3, first 2 shown]
	v_add_f64 v[4:5], v[120:121], v[4:5]
	v_fma_f64 v[120:121], v[110:111], s[6:7], -v[122:123]
	v_mul_f64 v[179:180], v[153:154], s[34:35]
	v_mul_f64 v[175:176], v[199:200], s[34:35]
	;; [unrolled: 1-line block ×6, first 2 shown]
	v_add_f64 v[6:7], v[120:121], v[6:7]
	v_mul_f64 v[120:121], v[118:119], s[42:43]
	scratch_store_b64 off, v[122:123], off offset:152 ; 8-byte Folded Spill
	v_mul_f64 v[122:123], v[116:117], s[42:43]
	scratch_store_b64 off, v[120:121], off offset:224 ; 8-byte Folded Spill
	v_fma_f64 v[120:121], v[108:109], s[10:11], v[120:121]
	scratch_store_b64 off, v[122:123], off offset:232 ; 8-byte Folded Spill
	v_add_f64 v[8:9], v[120:121], v[8:9]
	v_fma_f64 v[120:121], v[110:111], s[10:11], -v[122:123]
	v_mul_f64 v[122:123], v[116:117], s[26:27]
	s_delay_alu instid0(VALU_DEP_2)
	v_add_f64 v[10:11], v[120:121], v[10:11]
	v_mul_f64 v[120:121], v[118:119], s[26:27]
	s_clause 0x1
	scratch_store_b64 off, v[122:123], off offset:216
	scratch_store_b64 off, v[120:121], off offset:208
	v_fma_f64 v[120:121], v[108:109], s[18:19], v[120:121]
	s_delay_alu instid0(VALU_DEP_1) | instskip(SKIP_2) | instid1(VALU_DEP_2)
	v_add_f64 v[12:13], v[120:121], v[12:13]
	v_fma_f64 v[120:121], v[110:111], s[18:19], -v[122:123]
	v_mul_f64 v[122:123], v[116:117], s[34:35]
	v_add_f64 v[14:15], v[120:121], v[14:15]
	v_mul_f64 v[120:121], v[118:119], s[34:35]
	s_clause 0x1
	scratch_store_b64 off, v[122:123], off offset:192
	scratch_store_b64 off, v[120:121], off offset:184
	v_fma_f64 v[120:121], v[108:109], s[22:23], v[120:121]
	s_delay_alu instid0(VALU_DEP_1) | instskip(SKIP_2) | instid1(VALU_DEP_2)
	v_add_f64 v[16:17], v[120:121], v[16:17]
	v_fma_f64 v[120:121], v[110:111], s[22:23], -v[122:123]
	v_mul_f64 v[122:123], v[116:117], s[50:51]
	v_add_f64 v[18:19], v[120:121], v[18:19]
	v_mul_f64 v[120:121], v[118:119], s[50:51]
	scratch_store_b64 off, v[120:121], off offset:160 ; 8-byte Folded Spill
	v_fma_f64 v[120:121], v[108:109], s[20:21], v[120:121]
	s_delay_alu instid0(VALU_DEP_1) | instskip(SKIP_1) | instid1(VALU_DEP_1)
	v_add_f64 v[20:21], v[120:121], v[20:21]
	v_fma_f64 v[120:121], v[110:111], s[20:21], -v[122:123]
	v_add_f64 v[22:23], v[120:121], v[22:23]
	v_mul_f64 v[120:121], v[118:119], s[48:49]
	scratch_store_b64 off, v[122:123], off offset:176 ; 8-byte Folded Spill
	v_mul_f64 v[122:123], v[116:117], s[48:49]
	scratch_store_b64 off, v[120:121], off offset:240 ; 8-byte Folded Spill
	v_fma_f64 v[120:121], v[108:109], s[16:17], v[120:121]
	scratch_store_b64 off, v[122:123], off offset:248 ; 8-byte Folded Spill
	v_add_f64 v[24:25], v[120:121], v[24:25]
	v_fma_f64 v[120:121], v[110:111], s[16:17], -v[122:123]
	s_delay_alu instid0(VALU_DEP_1) | instskip(SKIP_2) | instid1(VALU_DEP_2)
	v_add_f64 v[26:27], v[120:121], v[26:27]
	v_mul_f64 v[120:121], v[118:119], s[28:29]
	v_mul_f64 v[118:119], v[118:119], s[44:45]
	v_fma_f64 v[122:123], v[108:109], s[8:9], -v[120:121]
	v_fma_f64 v[120:121], v[108:109], s[8:9], v[120:121]
	s_delay_alu instid0(VALU_DEP_2) | instskip(SKIP_1) | instid1(VALU_DEP_3)
	v_add_f64 v[30:31], v[122:123], v[30:31]
	v_mul_f64 v[122:123], v[116:117], s[28:29]
	v_add_f64 v[28:29], v[120:121], v[28:29]
	v_mul_f64 v[116:117], v[116:117], s[44:45]
	s_delay_alu instid0(VALU_DEP_3) | instskip(SKIP_1) | instid1(VALU_DEP_2)
	v_fma_f64 v[120:121], v[110:111], s[8:9], -v[122:123]
	v_fma_f64 v[124:125], v[110:111], s[8:9], v[122:123]
	v_add_f64 v[32:33], v[120:121], v[32:33]
	v_fma_f64 v[120:121], v[108:109], s[4:5], -v[118:119]
	v_fma_f64 v[118:119], v[108:109], s[4:5], v[118:119]
	s_delay_alu instid0(VALU_DEP_4) | instskip(NEXT) | instid1(VALU_DEP_3)
	v_add_f64 v[34:35], v[124:125], v[34:35]
	v_add_f64 v[60:61], v[120:121], v[60:61]
	v_fma_f64 v[120:121], v[110:111], s[4:5], v[116:117]
	s_delay_alu instid0(VALU_DEP_4) | instskip(SKIP_2) | instid1(VALU_DEP_4)
	v_add_f64 v[2:3], v[118:119], v[2:3]
	v_fma_f64 v[116:117], v[110:111], s[4:5], -v[116:117]
	v_add_f64 v[118:119], v[78:79], -v[50:51]
	v_add_f64 v[62:63], v[120:121], v[62:63]
	s_delay_alu instid0(VALU_DEP_3) | instskip(SKIP_1) | instid1(VALU_DEP_4)
	v_add_f64 v[0:1], v[116:117], v[0:1]
	v_add_f64 v[116:117], v[76:77], -v[48:49]
	v_mul_f64 v[120:121], v[118:119], s[36:37]
	s_delay_alu instid0(VALU_DEP_2) | instskip(SKIP_2) | instid1(VALU_DEP_1)
	v_mul_f64 v[122:123], v[116:117], s[36:37]
	scratch_store_b64 off, v[120:121], off offset:256 ; 8-byte Folded Spill
	v_fma_f64 v[120:121], v[145:146], s[8:9], v[120:121]
	v_add_f64 v[4:5], v[120:121], v[4:5]
	v_fma_f64 v[120:121], v[149:150], s[8:9], -v[122:123]
	s_delay_alu instid0(VALU_DEP_1)
	v_add_f64 v[6:7], v[120:121], v[6:7]
	v_mul_f64 v[120:121], v[118:119], s[26:27]
	scratch_store_b64 off, v[122:123], off offset:264 ; 8-byte Folded Spill
	v_mul_f64 v[122:123], v[116:117], s[26:27]
	scratch_store_b64 off, v[120:121], off offset:320 ; 8-byte Folded Spill
	v_fma_f64 v[120:121], v[145:146], s[18:19], v[120:121]
	scratch_store_b64 off, v[122:123], off offset:328 ; 8-byte Folded Spill
	v_add_f64 v[8:9], v[120:121], v[8:9]
	v_fma_f64 v[120:121], v[149:150], s[18:19], -v[122:123]
	v_mul_f64 v[122:123], v[116:117], s[40:41]
	s_delay_alu instid0(VALU_DEP_2)
	v_add_f64 v[10:11], v[120:121], v[10:11]
	v_mul_f64 v[120:121], v[118:119], s[40:41]
	s_mov_b32 s41, 0x3fe58eea
	s_mov_b32 s40, s46
	scratch_store_b64 off, v[122:123], off offset:312 ; 8-byte Folded Spill
	v_mul_f64 v[171:172], v[153:154], s[40:41]
	v_mul_f64 v[193:194], v[199:200], s[40:41]
	scratch_store_b64 off, v[120:121], off offset:304 ; 8-byte Folded Spill
	v_fma_f64 v[120:121], v[145:146], s[22:23], v[120:121]
	s_delay_alu instid0(VALU_DEP_1) | instskip(SKIP_2) | instid1(VALU_DEP_2)
	v_add_f64 v[12:13], v[120:121], v[12:13]
	v_fma_f64 v[120:121], v[149:150], s[22:23], -v[122:123]
	v_mul_f64 v[122:123], v[116:117], s[48:49]
	v_add_f64 v[14:15], v[120:121], v[14:15]
	v_mul_f64 v[120:121], v[118:119], s[48:49]
	s_clause 0x1
	scratch_store_b64 off, v[122:123], off offset:296
	scratch_store_b64 off, v[120:121], off offset:288
	v_fma_f64 v[120:121], v[145:146], s[16:17], v[120:121]
	s_delay_alu instid0(VALU_DEP_1) | instskip(SKIP_2) | instid1(VALU_DEP_2)
	v_add_f64 v[16:17], v[120:121], v[16:17]
	v_fma_f64 v[120:121], v[149:150], s[16:17], -v[122:123]
	v_mul_f64 v[122:123], v[116:117], s[40:41]
	v_add_f64 v[18:19], v[120:121], v[18:19]
	v_mul_f64 v[120:121], v[118:119], s[40:41]
	scratch_store_b64 off, v[120:121], off offset:272 ; 8-byte Folded Spill
	v_fma_f64 v[120:121], v[145:146], s[6:7], v[120:121]
	s_delay_alu instid0(VALU_DEP_1) | instskip(SKIP_1) | instid1(VALU_DEP_1)
	v_add_f64 v[20:21], v[120:121], v[20:21]
	v_fma_f64 v[120:121], v[149:150], s[6:7], -v[122:123]
	v_add_f64 v[22:23], v[120:121], v[22:23]
	v_mul_f64 v[120:121], v[118:119], s[38:39]
	scratch_store_b64 off, v[122:123], off offset:280 ; 8-byte Folded Spill
	v_mul_f64 v[122:123], v[116:117], s[38:39]
	scratch_store_b64 off, v[120:121], off offset:336 ; 8-byte Folded Spill
	v_fma_f64 v[120:121], v[145:146], s[4:5], v[120:121]
	scratch_store_b64 off, v[122:123], off offset:344 ; 8-byte Folded Spill
	v_add_f64 v[24:25], v[120:121], v[24:25]
	v_fma_f64 v[120:121], v[149:150], s[4:5], -v[122:123]
	s_delay_alu instid0(VALU_DEP_1) | instskip(SKIP_2) | instid1(VALU_DEP_2)
	v_add_f64 v[26:27], v[120:121], v[26:27]
	v_mul_f64 v[120:121], v[118:119], s[42:43]
	v_mul_f64 v[118:119], v[118:119], s[30:31]
	v_fma_f64 v[122:123], v[145:146], s[10:11], -v[120:121]
	v_fma_f64 v[120:121], v[145:146], s[10:11], v[120:121]
	s_delay_alu instid0(VALU_DEP_2) | instskip(SKIP_1) | instid1(VALU_DEP_3)
	v_add_f64 v[30:31], v[122:123], v[30:31]
	v_mul_f64 v[122:123], v[116:117], s[42:43]
	v_add_f64 v[28:29], v[120:121], v[28:29]
	v_mul_f64 v[116:117], v[116:117], s[30:31]
	s_delay_alu instid0(VALU_DEP_3) | instskip(SKIP_1) | instid1(VALU_DEP_2)
	v_fma_f64 v[120:121], v[149:150], s[10:11], -v[122:123]
	v_fma_f64 v[124:125], v[149:150], s[10:11], v[122:123]
	v_add_f64 v[32:33], v[120:121], v[32:33]
	v_fma_f64 v[120:121], v[145:146], s[20:21], -v[118:119]
	v_fma_f64 v[118:119], v[145:146], s[20:21], v[118:119]
	s_delay_alu instid0(VALU_DEP_4) | instskip(NEXT) | instid1(VALU_DEP_3)
	v_add_f64 v[34:35], v[124:125], v[34:35]
	v_add_f64 v[60:61], v[120:121], v[60:61]
	v_fma_f64 v[120:121], v[149:150], s[20:21], v[116:117]
	s_delay_alu instid0(VALU_DEP_4) | instskip(SKIP_2) | instid1(VALU_DEP_4)
	v_add_f64 v[2:3], v[118:119], v[2:3]
	v_fma_f64 v[116:117], v[149:150], s[20:21], -v[116:117]
	v_add_f64 v[118:119], v[82:83], -v[54:55]
	v_add_f64 v[62:63], v[120:121], v[62:63]
	s_delay_alu instid0(VALU_DEP_3) | instskip(SKIP_1) | instid1(VALU_DEP_4)
	v_add_f64 v[0:1], v[116:117], v[0:1]
	v_add_f64 v[116:117], v[80:81], -v[52:53]
	v_mul_f64 v[120:121], v[118:119], s[42:43]
	v_mul_f64 v[221:222], v[118:119], s[30:31]
	s_delay_alu instid0(VALU_DEP_3) | instskip(SKIP_3) | instid1(VALU_DEP_2)
	v_mul_f64 v[122:123], v[116:117], s[42:43]
	scratch_store_b64 off, v[120:121], off offset:352 ; 8-byte Folded Spill
	v_fma_f64 v[120:121], v[173:174], s[10:11], v[120:121]
	v_mul_f64 v[227:228], v[116:117], s[30:31]
	v_add_f64 v[4:5], v[120:121], v[4:5]
	v_fma_f64 v[120:121], v[177:178], s[10:11], -v[122:123]
	s_delay_alu instid0(VALU_DEP_1)
	v_add_f64 v[6:7], v[120:121], v[6:7]
	v_mul_f64 v[120:121], v[118:119], s[34:35]
	scratch_store_b64 off, v[122:123], off offset:360 ; 8-byte Folded Spill
	v_mul_f64 v[122:123], v[116:117], s[34:35]
	scratch_store_b64 off, v[120:121], off offset:416 ; 8-byte Folded Spill
	v_fma_f64 v[120:121], v[173:174], s[22:23], v[120:121]
	scratch_store_b64 off, v[122:123], off offset:424 ; 8-byte Folded Spill
	v_add_f64 v[8:9], v[120:121], v[8:9]
	v_fma_f64 v[120:121], v[177:178], s[22:23], -v[122:123]
	v_mul_f64 v[122:123], v[116:117], s[48:49]
	s_delay_alu instid0(VALU_DEP_2)
	v_add_f64 v[10:11], v[120:121], v[10:11]
	v_mul_f64 v[120:121], v[118:119], s[48:49]
	s_clause 0x1
	scratch_store_b64 off, v[122:123], off offset:408
	scratch_store_b64 off, v[120:121], off offset:400
	v_fma_f64 v[120:121], v[173:174], s[16:17], v[120:121]
	s_delay_alu instid0(VALU_DEP_1) | instskip(SKIP_2) | instid1(VALU_DEP_2)
	v_add_f64 v[12:13], v[120:121], v[12:13]
	v_fma_f64 v[120:121], v[177:178], s[16:17], -v[122:123]
	v_mul_f64 v[122:123], v[116:117], s[44:45]
	v_add_f64 v[14:15], v[120:121], v[14:15]
	v_mul_f64 v[120:121], v[118:119], s[44:45]
	s_clause 0x1
	scratch_store_b64 off, v[122:123], off offset:392
	scratch_store_b64 off, v[120:121], off offset:384
	v_fma_f64 v[120:121], v[173:174], s[4:5], v[120:121]
	s_delay_alu instid0(VALU_DEP_1) | instskip(SKIP_2) | instid1(VALU_DEP_2)
	v_add_f64 v[16:17], v[120:121], v[16:17]
	v_fma_f64 v[120:121], v[177:178], s[4:5], -v[122:123]
	v_mul_f64 v[122:123], v[116:117], s[36:37]
	v_add_f64 v[18:19], v[120:121], v[18:19]
	v_mul_f64 v[120:121], v[118:119], s[36:37]
	s_clause 0x1
	scratch_store_b64 off, v[122:123], off offset:376
	scratch_store_b64 off, v[120:121], off offset:368
	v_fma_f64 v[120:121], v[173:174], s[8:9], v[120:121]
	s_waitcnt_vscnt null, 0x0
	s_barrier
	buffer_gl0_inv
	v_add_f64 v[20:21], v[120:121], v[20:21]
	v_fma_f64 v[120:121], v[177:178], s[8:9], -v[122:123]
	s_delay_alu instid0(VALU_DEP_1) | instskip(SKIP_1) | instid1(VALU_DEP_1)
	v_add_f64 v[22:23], v[120:121], v[22:23]
	v_fma_f64 v[120:121], v[173:174], s[20:21], v[221:222]
	v_add_f64 v[24:25], v[120:121], v[24:25]
	v_fma_f64 v[120:121], v[177:178], s[20:21], -v[227:228]
	s_delay_alu instid0(VALU_DEP_1) | instskip(SKIP_2) | instid1(VALU_DEP_2)
	v_add_f64 v[26:27], v[120:121], v[26:27]
	v_mul_f64 v[120:121], v[118:119], s[52:53]
	v_mul_f64 v[118:119], v[118:119], s[40:41]
	v_fma_f64 v[122:123], v[173:174], s[18:19], -v[120:121]
	v_fma_f64 v[120:121], v[173:174], s[18:19], v[120:121]
	s_delay_alu instid0(VALU_DEP_2) | instskip(SKIP_1) | instid1(VALU_DEP_3)
	v_add_f64 v[30:31], v[122:123], v[30:31]
	v_mul_f64 v[122:123], v[116:117], s[52:53]
	v_add_f64 v[28:29], v[120:121], v[28:29]
	v_mul_f64 v[116:117], v[116:117], s[40:41]
	s_delay_alu instid0(VALU_DEP_3) | instskip(SKIP_1) | instid1(VALU_DEP_2)
	v_fma_f64 v[120:121], v[177:178], s[18:19], -v[122:123]
	v_fma_f64 v[124:125], v[177:178], s[18:19], v[122:123]
	v_add_f64 v[32:33], v[120:121], v[32:33]
	v_fma_f64 v[120:121], v[173:174], s[6:7], -v[118:119]
	v_fma_f64 v[118:119], v[173:174], s[6:7], v[118:119]
	s_delay_alu instid0(VALU_DEP_4) | instskip(NEXT) | instid1(VALU_DEP_3)
	v_add_f64 v[34:35], v[124:125], v[34:35]
	v_add_f64 v[60:61], v[120:121], v[60:61]
	v_fma_f64 v[120:121], v[177:178], s[6:7], v[116:117]
	s_delay_alu instid0(VALU_DEP_4) | instskip(SKIP_2) | instid1(VALU_DEP_4)
	v_add_f64 v[2:3], v[118:119], v[2:3]
	v_fma_f64 v[116:117], v[177:178], s[6:7], -v[116:117]
	v_add_f64 v[118:119], v[86:87], -v[58:59]
	v_add_f64 v[62:63], v[120:121], v[62:63]
	s_delay_alu instid0(VALU_DEP_3) | instskip(SKIP_1) | instid1(VALU_DEP_4)
	v_add_f64 v[0:1], v[116:117], v[0:1]
	v_add_f64 v[116:117], v[84:85], -v[56:57]
	v_mul_f64 v[223:224], v[118:119], s[24:25]
	v_mul_f64 v[245:246], v[118:119], s[50:51]
	;; [unrolled: 1-line block ×6, first 2 shown]
	v_fma_f64 v[120:121], v[201:202], s[16:17], v[223:224]
	v_mul_f64 v[247:248], v[116:117], s[50:51]
	v_mul_f64 v[243:244], v[116:117], s[40:41]
	;; [unrolled: 1-line block ×4, first 2 shown]
	s_mov_b32 s37, 0x3fefdd0d
	s_mov_b32 s36, s42
	s_delay_alu instid0(SALU_CYCLE_1) | instskip(SKIP_3) | instid1(VALU_DEP_1)
	v_mul_f64 v[249:250], v[118:119], s[36:37]
	v_mul_f64 v[253:254], v[116:117], s[36:37]
	v_add_f64 v[4:5], v[120:121], v[4:5]
	v_fma_f64 v[120:121], v[203:204], s[16:17], -v[225:226]
	v_add_f64 v[6:7], v[120:121], v[6:7]
	v_fma_f64 v[120:121], v[201:202], s[20:21], v[245:246]
	s_delay_alu instid0(VALU_DEP_1) | instskip(SKIP_1) | instid1(VALU_DEP_1)
	v_add_f64 v[8:9], v[120:121], v[8:9]
	v_fma_f64 v[120:121], v[203:204], s[20:21], -v[247:248]
	v_add_f64 v[10:11], v[120:121], v[10:11]
	v_fma_f64 v[120:121], v[201:202], s[6:7], v[241:242]
	s_delay_alu instid0(VALU_DEP_1) | instskip(SKIP_1) | instid1(VALU_DEP_1)
	;; [unrolled: 5-line block ×5, first 2 shown]
	v_add_f64 v[24:25], v[120:121], v[24:25]
	v_fma_f64 v[120:121], v[203:204], s[10:11], -v[253:254]
	v_add_f64 v[26:27], v[120:121], v[26:27]
	v_mul_f64 v[120:121], v[118:119], s[38:39]
	v_mul_f64 v[118:119], v[118:119], s[26:27]
	s_delay_alu instid0(VALU_DEP_2) | instskip(SKIP_1) | instid1(VALU_DEP_2)
	v_fma_f64 v[122:123], v[201:202], s[4:5], -v[120:121]
	v_fma_f64 v[120:121], v[201:202], s[4:5], v[120:121]
	v_add_f64 v[30:31], v[122:123], v[30:31]
	v_mul_f64 v[122:123], v[116:117], s[38:39]
	s_delay_alu instid0(VALU_DEP_3) | instskip(SKIP_1) | instid1(VALU_DEP_3)
	v_add_f64 v[28:29], v[120:121], v[28:29]
	v_mul_f64 v[116:117], v[116:117], s[26:27]
	v_fma_f64 v[120:121], v[203:204], s[4:5], -v[122:123]
	v_fma_f64 v[124:125], v[203:204], s[4:5], v[122:123]
	s_delay_alu instid0(VALU_DEP_2) | instskip(SKIP_2) | instid1(VALU_DEP_4)
	v_add_f64 v[32:33], v[120:121], v[32:33]
	v_fma_f64 v[120:121], v[201:202], s[18:19], -v[118:119]
	v_fma_f64 v[118:119], v[201:202], s[18:19], v[118:119]
	v_add_f64 v[34:35], v[124:125], v[34:35]
	s_delay_alu instid0(VALU_DEP_3) | instskip(SKIP_1) | instid1(VALU_DEP_4)
	v_add_f64 v[60:61], v[120:121], v[60:61]
	v_fma_f64 v[120:121], v[203:204], s[18:19], v[116:117]
	v_add_f64 v[2:3], v[118:119], v[2:3]
	v_fma_f64 v[116:117], v[203:204], s[18:19], -v[116:117]
	v_add_f64 v[118:119], v[88:89], -v[64:65]
	s_delay_alu instid0(VALU_DEP_4) | instskip(SKIP_1) | instid1(VALU_DEP_4)
	v_add_f64 v[62:63], v[120:121], v[62:63]
	v_add_f64 v[120:121], v[90:91], -v[66:67]
	v_add_f64 v[0:1], v[116:117], v[0:1]
	s_delay_alu instid0(VALU_DEP_4)
	v_mul_f64 v[116:117], v[118:119], s[26:27]
	v_mul_f64 v[137:138], v[118:119], s[48:49]
	;; [unrolled: 1-line block ×10, first 2 shown]
	s_delay_alu instid0(VALU_DEP_4) | instskip(NEXT) | instid1(VALU_DEP_1)
	v_fma_f64 v[122:123], v[229:230], s[18:19], v[251:252]
	v_add_f64 v[4:5], v[122:123], v[4:5]
	v_fma_f64 v[122:123], v[231:232], s[18:19], -v[116:117]
	s_delay_alu instid0(VALU_DEP_1) | instskip(SKIP_1) | instid1(VALU_DEP_1)
	v_add_f64 v[6:7], v[122:123], v[6:7]
	v_fma_f64 v[122:123], v[229:230], s[16:17], v[135:136]
	v_add_f64 v[8:9], v[122:123], v[8:9]
	v_fma_f64 v[122:123], v[231:232], s[16:17], -v[137:138]
	s_delay_alu instid0(VALU_DEP_1) | instskip(SKIP_1) | instid1(VALU_DEP_1)
	v_add_f64 v[10:11], v[122:123], v[10:11]
	;; [unrolled: 5-line block ×4, first 2 shown]
	v_mul_f64 v[122:123], v[120:121], s[36:37]
	v_fma_f64 v[139:140], v[229:230], s[10:11], v[122:123]
	s_delay_alu instid0(VALU_DEP_1) | instskip(SKIP_1) | instid1(VALU_DEP_1)
	v_add_f64 v[20:21], v[139:140], v[20:21]
	v_fma_f64 v[139:140], v[231:232], s[10:11], -v[124:125]
	v_add_f64 v[22:23], v[139:140], v[22:23]
	v_mul_f64 v[139:140], v[120:121], s[46:47]
	s_delay_alu instid0(VALU_DEP_1) | instskip(NEXT) | instid1(VALU_DEP_1)
	v_fma_f64 v[141:142], v[229:230], s[6:7], v[139:140]
	v_add_f64 v[24:25], v[141:142], v[24:25]
	v_fma_f64 v[141:142], v[231:232], s[6:7], -v[143:144]
	s_delay_alu instid0(VALU_DEP_1) | instskip(SKIP_2) | instid1(VALU_DEP_2)
	v_add_f64 v[26:27], v[141:142], v[26:27]
	v_mul_f64 v[141:142], v[120:121], s[34:35]
	v_mul_f64 v[120:121], v[120:121], s[28:29]
	v_fma_f64 v[147:148], v[229:230], s[22:23], -v[141:142]
	v_fma_f64 v[141:142], v[229:230], s[22:23], v[141:142]
	s_delay_alu instid0(VALU_DEP_2) | instskip(SKIP_1) | instid1(VALU_DEP_3)
	v_add_f64 v[30:31], v[147:148], v[30:31]
	v_mul_f64 v[147:148], v[118:119], s[34:35]
	v_add_f64 v[28:29], v[141:142], v[28:29]
	v_mul_f64 v[118:119], v[118:119], s[28:29]
	s_delay_alu instid0(VALU_DEP_3) | instskip(SKIP_1) | instid1(VALU_DEP_2)
	v_fma_f64 v[141:142], v[231:232], s[22:23], -v[147:148]
	v_fma_f64 v[151:152], v[231:232], s[22:23], v[147:148]
	v_add_f64 v[32:33], v[141:142], v[32:33]
	v_fma_f64 v[141:142], v[229:230], s[8:9], -v[120:121]
	s_delay_alu instid0(VALU_DEP_3) | instskip(SKIP_2) | instid1(VALU_DEP_4)
	v_add_f64 v[34:35], v[151:152], v[34:35]
	v_fma_f64 v[120:121], v[229:230], s[8:9], v[120:121]
	v_add_f64 v[151:152], v[96:97], -v[92:93]
	v_add_f64 v[60:61], v[141:142], v[60:61]
	v_fma_f64 v[141:142], v[231:232], s[8:9], v[118:119]
	v_fma_f64 v[118:119], v[231:232], s[8:9], -v[118:119]
	v_add_f64 v[2:3], v[120:121], v[2:3]
	v_add_f64 v[120:121], v[98:99], v[94:95]
	v_mul_f64 v[147:148], v[151:152], s[30:31]
	v_mul_f64 v[169:170], v[151:152], s[28:29]
	;; [unrolled: 1-line block ×6, first 2 shown]
	v_add_f64 v[62:63], v[141:142], v[62:63]
	v_add_f64 v[0:1], v[118:119], v[0:1]
	;; [unrolled: 1-line block ×3, first 2 shown]
	v_mul_f64 v[141:142], v[153:154], s[30:31]
	s_delay_alu instid0(VALU_DEP_1) | instskip(NEXT) | instid1(VALU_DEP_1)
	v_fma_f64 v[155:156], v[118:119], s[20:21], v[141:142]
	v_add_f64 v[4:5], v[155:156], v[4:5]
	v_fma_f64 v[155:156], v[120:121], s[20:21], -v[147:148]
	s_delay_alu instid0(VALU_DEP_1) | instskip(SKIP_1) | instid1(VALU_DEP_1)
	v_add_f64 v[6:7], v[155:156], v[6:7]
	v_fma_f64 v[155:156], v[118:119], s[8:9], v[167:168]
	v_add_f64 v[187:188], v[155:156], v[8:9]
	v_fma_f64 v[8:9], v[120:121], s[8:9], -v[169:170]
	v_mul_f64 v[155:156], v[153:154], s[38:39]
	v_mul_f64 v[153:154], v[153:154], s[24:25]
	s_delay_alu instid0(VALU_DEP_3) | instskip(SKIP_2) | instid1(VALU_DEP_2)
	v_add_f64 v[189:190], v[8:9], v[10:11]
	v_fma_f64 v[8:9], v[118:119], s[10:11], v[163:164]
	v_fma_f64 v[10:11], v[120:121], s[10:11], -v[165:166]
	v_add_f64 v[8:9], v[8:9], v[12:13]
	v_fma_f64 v[12:13], v[118:119], s[18:19], v[159:160]
	s_delay_alu instid0(VALU_DEP_3) | instskip(SKIP_1) | instid1(VALU_DEP_3)
	v_add_f64 v[10:11], v[10:11], v[14:15]
	v_fma_f64 v[14:15], v[120:121], s[18:19], -v[161:162]
	v_add_f64 v[12:13], v[12:13], v[16:17]
	v_fma_f64 v[16:17], v[118:119], s[4:5], v[155:156]
	s_delay_alu instid0(VALU_DEP_3) | instskip(SKIP_1) | instid1(VALU_DEP_3)
	v_add_f64 v[14:15], v[14:15], v[18:19]
	;; [unrolled: 5-line block ×3, first 2 shown]
	v_fma_f64 v[22:23], v[120:121], s[22:23], -v[181:182]
	v_add_f64 v[20:21], v[20:21], v[24:25]
	v_fma_f64 v[24:25], v[118:119], s[6:7], -v[171:172]
	s_delay_alu instid0(VALU_DEP_3) | instskip(NEXT) | instid1(VALU_DEP_2)
	v_add_f64 v[22:23], v[22:23], v[26:27]
	v_add_f64 v[24:25], v[24:25], v[30:31]
	v_mul_f64 v[30:31], v[151:152], s[40:41]
	v_mul_f64 v[151:152], v[151:152], s[24:25]
	s_delay_alu instid0(VALU_DEP_2) | instskip(SKIP_1) | instid1(VALU_DEP_2)
	v_fma_f64 v[26:27], v[120:121], s[6:7], v[30:31]
	v_fma_f64 v[30:31], v[120:121], s[6:7], -v[30:31]
	v_add_f64 v[26:27], v[26:27], v[34:35]
	s_delay_alu instid0(VALU_DEP_2) | instskip(SKIP_3) | instid1(VALU_DEP_3)
	v_add_f64 v[30:31], v[30:31], v[32:33]
	v_fma_f64 v[32:33], v[118:119], s[16:17], -v[153:154]
	v_fma_f64 v[34:35], v[118:119], s[6:7], v[171:172]
	v_mul_f64 v[171:172], v[209:210], s[34:35]
	v_add_f64 v[32:33], v[32:33], v[60:61]
	v_fma_f64 v[60:61], v[118:119], s[16:17], v[153:154]
	s_delay_alu instid0(VALU_DEP_4) | instskip(SKIP_2) | instid1(VALU_DEP_4)
	v_add_f64 v[28:29], v[34:35], v[28:29]
	v_fma_f64 v[34:35], v[120:121], s[16:17], v[151:152]
	v_add_f64 v[153:154], v[102:103], v[106:107]
	v_add_f64 v[60:61], v[60:61], v[2:3]
	v_fma_f64 v[2:3], v[120:121], s[16:17], -v[151:152]
	v_add_f64 v[151:152], v[100:101], v[104:105]
	v_add_f64 v[34:35], v[34:35], v[62:63]
	s_delay_alu instid0(VALU_DEP_3) | instskip(NEXT) | instid1(VALU_DEP_3)
	v_add_f64 v[62:63], v[2:3], v[0:1]
	v_fma_f64 v[0:1], v[151:152], s[22:23], v[171:172]
	v_fma_f64 v[2:3], v[153:154], s[22:23], -v[175:176]
	s_delay_alu instid0(VALU_DEP_2) | instskip(SKIP_1) | instid1(VALU_DEP_3)
	v_add_f64 v[0:1], v[0:1], v[4:5]
	v_fma_f64 v[4:5], v[151:152], s[4:5], v[183:184]
	v_add_f64 v[2:3], v[2:3], v[6:7]
	v_fma_f64 v[6:7], v[153:154], s[4:5], -v[185:186]
	s_delay_alu instid0(VALU_DEP_3) | instskip(SKIP_1) | instid1(VALU_DEP_3)
	v_add_f64 v[4:5], v[4:5], v[187:188]
	v_mul_f64 v[187:188], v[209:210], s[30:31]
	v_add_f64 v[6:7], v[6:7], v[189:190]
	v_mul_f64 v[189:190], v[199:200], s[30:31]
	s_delay_alu instid0(VALU_DEP_3) | instskip(NEXT) | instid1(VALU_DEP_1)
	v_fma_f64 v[191:192], v[151:152], s[20:21], v[187:188]
	v_add_f64 v[8:9], v[191:192], v[8:9]
	s_delay_alu instid0(VALU_DEP_3) | instskip(NEXT) | instid1(VALU_DEP_1)
	v_fma_f64 v[191:192], v[153:154], s[20:21], -v[189:190]
	v_add_f64 v[10:11], v[191:192], v[10:11]
	v_mul_f64 v[191:192], v[209:210], s[40:41]
	s_delay_alu instid0(VALU_DEP_1) | instskip(NEXT) | instid1(VALU_DEP_1)
	v_fma_f64 v[195:196], v[151:152], s[6:7], v[191:192]
	v_add_f64 v[12:13], v[195:196], v[12:13]
	v_fma_f64 v[195:196], v[153:154], s[6:7], -v[193:194]
	s_delay_alu instid0(VALU_DEP_1) | instskip(SKIP_1) | instid1(VALU_DEP_1)
	v_add_f64 v[14:15], v[195:196], v[14:15]
	v_mul_f64 v[195:196], v[209:210], s[26:27]
	v_fma_f64 v[205:206], v[151:152], s[18:19], v[195:196]
	s_delay_alu instid0(VALU_DEP_1) | instskip(SKIP_1) | instid1(VALU_DEP_1)
	v_add_f64 v[16:17], v[205:206], v[16:17]
	v_fma_f64 v[205:206], v[153:154], s[18:19], -v[197:198]
	v_add_f64 v[18:19], v[205:206], v[18:19]
	v_mul_f64 v[205:206], v[209:210], s[28:29]
	s_delay_alu instid0(VALU_DEP_1) | instskip(NEXT) | instid1(VALU_DEP_1)
	v_fma_f64 v[211:212], v[151:152], s[8:9], v[205:206]
	v_add_f64 v[20:21], v[211:212], v[20:21]
	v_fma_f64 v[211:212], v[153:154], s[8:9], -v[207:208]
	s_delay_alu instid0(VALU_DEP_1) | instskip(SKIP_2) | instid1(VALU_DEP_2)
	v_add_f64 v[22:23], v[211:212], v[22:23]
	v_mul_f64 v[211:212], v[209:210], s[24:25]
	v_mul_f64 v[209:210], v[209:210], s[36:37]
	v_fma_f64 v[213:214], v[151:152], s[16:17], -v[211:212]
	v_fma_f64 v[211:212], v[151:152], s[16:17], v[211:212]
	s_delay_alu instid0(VALU_DEP_2) | instskip(SKIP_1) | instid1(VALU_DEP_3)
	v_add_f64 v[24:25], v[213:214], v[24:25]
	v_mul_f64 v[213:214], v[199:200], s[24:25]
	v_add_f64 v[28:29], v[211:212], v[28:29]
	v_mul_f64 v[199:200], v[199:200], s[36:37]
	s_delay_alu instid0(VALU_DEP_3) | instskip(SKIP_1) | instid1(VALU_DEP_2)
	v_fma_f64 v[211:212], v[153:154], s[16:17], -v[213:214]
	v_fma_f64 v[215:216], v[153:154], s[16:17], v[213:214]
	v_add_f64 v[30:31], v[211:212], v[30:31]
	v_fma_f64 v[211:212], v[151:152], s[10:11], -v[209:210]
	v_fma_f64 v[209:210], v[151:152], s[10:11], v[209:210]
	s_delay_alu instid0(VALU_DEP_4) | instskip(NEXT) | instid1(VALU_DEP_3)
	v_add_f64 v[26:27], v[215:216], v[26:27]
	v_add_f64 v[32:33], v[211:212], v[32:33]
	v_fma_f64 v[211:212], v[153:154], s[10:11], v[199:200]
	v_fma_f64 v[199:200], v[153:154], s[10:11], -v[199:200]
	v_add_f64 v[60:61], v[209:210], v[60:61]
	s_delay_alu instid0(VALU_DEP_3) | instskip(NEXT) | instid1(VALU_DEP_3)
	v_add_f64 v[34:35], v[211:212], v[34:35]
	v_add_f64 v[62:63], v[199:200], v[62:63]
	v_mul_lo_u16 v199, v217, 17
	s_and_saveexec_b32 s24, vcc_lo
	s_cbranch_execz .LBB0_7
; %bb.6:
	v_add_f64 v[70:71], v[38:39], v[70:71]
	v_add_f64 v[68:69], v[36:37], v[68:69]
	s_delay_alu instid0(VALU_DEP_2) | instskip(NEXT) | instid1(VALU_DEP_2)
	v_add_f64 v[70:71], v[70:71], v[74:75]
	v_add_f64 v[68:69], v[68:69], v[72:73]
	scratch_load_b64 v[72:73], off, off offset:8 ; 8-byte Folded Reload
	v_add_f64 v[70:71], v[70:71], v[78:79]
	v_add_f64 v[68:69], v[68:69], v[76:77]
	v_mul_f64 v[76:77], v[145:146], s[4:5]
	scratch_load_b64 v[78:79], off, off offset:336 ; 8-byte Folded Reload
	v_add_f64 v[70:71], v[70:71], v[82:83]
	v_add_f64 v[68:69], v[68:69], v[80:81]
	scratch_load_b64 v[80:81], off, off offset:240 ; 8-byte Folded Reload
	v_mul_f64 v[82:83], v[201:202], s[10:11]
	v_add_f64 v[70:71], v[70:71], v[86:87]
	v_add_f64 v[68:69], v[68:69], v[84:85]
	v_mul_f64 v[84:85], v[231:232], s[6:7]
	s_delay_alu instid0(VALU_DEP_4) | instskip(NEXT) | instid1(VALU_DEP_4)
	v_add_f64 v[82:83], v[82:83], -v[249:250]
	v_add_f64 v[70:71], v[70:71], v[90:91]
	s_delay_alu instid0(VALU_DEP_4) | instskip(NEXT) | instid1(VALU_DEP_4)
	v_add_f64 v[68:69], v[68:69], v[88:89]
	v_add_f64 v[84:85], v[143:144], v[84:85]
	s_delay_alu instid0(VALU_DEP_3) | instskip(NEXT) | instid1(VALU_DEP_3)
	v_add_f64 v[70:71], v[70:71], v[98:99]
	v_add_f64 v[68:69], v[68:69], v[96:97]
	s_delay_alu instid0(VALU_DEP_2) | instskip(NEXT) | instid1(VALU_DEP_2)
	v_add_f64 v[70:71], v[70:71], v[102:103]
	v_add_f64 v[68:69], v[68:69], v[100:101]
	s_delay_alu instid0(VALU_DEP_2) | instskip(NEXT) | instid1(VALU_DEP_2)
	;; [unrolled: 3-line block ×4, first 2 shown]
	v_add_f64 v[66:67], v[70:71], v[66:67]
	v_add_f64 v[64:65], v[68:69], v[64:65]
	s_clause 0x1
	scratch_load_b64 v[68:69], off, off offset:32
	scratch_load_b64 v[70:71], off, off offset:16
	s_waitcnt vmcnt(3)
	v_add_f64 v[76:77], v[76:77], -v[78:79]
	v_mul_f64 v[78:79], v[108:109], s[16:17]
	v_add_f64 v[58:59], v[66:67], v[58:59]
	v_add_f64 v[56:57], v[64:65], v[56:57]
	s_clause 0x1
	scratch_load_b64 v[64:65], off, off offset:64
	scratch_load_b64 v[66:67], off, off offset:48
	s_waitcnt vmcnt(4)
	v_add_f64 v[78:79], v[78:79], -v[80:81]
	v_mul_f64 v[80:81], v[203:204], s[10:11]
	v_add_f64 v[54:55], v[58:59], v[54:55]
	v_add_f64 v[52:53], v[56:57], v[52:53]
	s_clause 0x1
	scratch_load_b64 v[56:57], off, off offset:88
	scratch_load_b64 v[58:59], off, off offset:80
	v_add_f64 v[80:81], v[253:254], v[80:81]
	v_add_f64 v[50:51], v[54:55], v[50:51]
	;; [unrolled: 1-line block ×3, first 2 shown]
	s_clause 0x1
	scratch_load_b64 v[52:53], off, off offset:104
	scratch_load_b64 v[54:55], off, off offset:96
	v_add_f64 v[46:47], v[50:51], v[46:47]
	v_add_f64 v[44:45], v[48:49], v[44:45]
	s_clause 0x1
	scratch_load_b64 v[48:49], off, off offset:128
	scratch_load_b64 v[50:51], off, off offset:112
	v_add_f64 v[42:43], v[46:47], v[42:43]
	scratch_load_b64 v[46:47], off, off offset:136 ; 8-byte Folded Reload
	v_add_f64 v[40:41], v[44:45], v[40:41]
	v_mul_f64 v[44:45], v[114:115], s[18:19]
	s_waitcnt vmcnt(0)
	s_delay_alu instid0(VALU_DEP_1) | instskip(SKIP_1) | instid1(VALU_DEP_2)
	v_add_f64 v[44:45], v[46:47], v[44:45]
	v_mul_f64 v[46:47], v[112:113], s[18:19]
	v_add_f64 v[44:45], v[38:39], v[44:45]
	s_delay_alu instid0(VALU_DEP_2) | instskip(SKIP_1) | instid1(VALU_DEP_2)
	v_add_f64 v[46:47], v[46:47], -v[48:49]
	v_mul_f64 v[48:49], v[114:115], s[16:17]
	v_add_f64 v[46:47], v[36:37], v[46:47]
	s_delay_alu instid0(VALU_DEP_2) | instskip(SKIP_1) | instid1(VALU_DEP_3)
	v_add_f64 v[48:49], v[50:51], v[48:49]
	v_mul_f64 v[50:51], v[112:113], s[16:17]
	v_add_f64 v[46:47], v[78:79], v[46:47]
	scratch_load_b64 v[78:79], off, off offset:320 ; 8-byte Folded Reload
	v_add_f64 v[50:51], v[50:51], -v[52:53]
	v_mul_f64 v[52:53], v[114:115], s[10:11]
	s_delay_alu instid0(VALU_DEP_2) | instskip(NEXT) | instid1(VALU_DEP_2)
	v_add_f64 v[74:75], v[36:37], v[50:51]
	v_add_f64 v[52:53], v[54:55], v[52:53]
	v_mul_f64 v[54:55], v[112:113], s[10:11]
	s_delay_alu instid0(VALU_DEP_2) | instskip(NEXT) | instid1(VALU_DEP_2)
	v_add_f64 v[52:53], v[38:39], v[52:53]
	v_add_f64 v[54:55], v[54:55], -v[56:57]
	v_mul_f64 v[56:57], v[114:115], s[8:9]
	s_delay_alu instid0(VALU_DEP_2) | instskip(NEXT) | instid1(VALU_DEP_2)
	v_add_f64 v[54:55], v[36:37], v[54:55]
	v_add_f64 v[56:57], v[58:59], v[56:57]
	v_mul_f64 v[58:59], v[112:113], s[8:9]
	s_delay_alu instid0(VALU_DEP_1) | instskip(SKIP_1) | instid1(VALU_DEP_2)
	v_add_f64 v[58:59], v[58:59], -v[64:65]
	v_mul_f64 v[64:65], v[114:115], s[6:7]
	v_add_f64 v[50:51], v[36:37], v[58:59]
	s_delay_alu instid0(VALU_DEP_2) | instskip(SKIP_1) | instid1(VALU_DEP_1)
	v_add_f64 v[64:65], v[66:67], v[64:65]
	v_mul_f64 v[66:67], v[112:113], s[6:7]
	v_add_f64 v[66:67], v[66:67], -v[68:69]
	v_mul_f64 v[68:69], v[114:115], s[4:5]
	s_delay_alu instid0(VALU_DEP_2) | instskip(NEXT) | instid1(VALU_DEP_2)
	v_add_f64 v[58:59], v[36:37], v[66:67]
	v_add_f64 v[68:69], v[70:71], v[68:69]
	v_mul_f64 v[70:71], v[112:113], s[4:5]
	s_delay_alu instid0(VALU_DEP_1)
	v_add_f64 v[70:71], v[70:71], -v[72:73]
	v_add_f64 v[72:73], v[38:39], v[48:49]
	v_add_f64 v[48:49], v[38:39], v[56:57]
	;; [unrolled: 1-line block ×4, first 2 shown]
	scratch_load_b64 v[68:69], off, off offset:344 ; 8-byte Folded Reload
	v_mul_f64 v[38:39], v[149:150], s[4:5]
	v_add_f64 v[66:67], v[36:37], v[70:71]
	scratch_load_b64 v[70:71], off, off offset:248 ; 8-byte Folded Reload
	v_mul_f64 v[36:37], v[177:178], s[20:21]
	s_delay_alu instid0(VALU_DEP_1) | instskip(SKIP_4) | instid1(VALU_DEP_1)
	v_add_f64 v[36:37], v[227:228], v[36:37]
	s_waitcnt vmcnt(1)
	v_add_f64 v[38:39], v[68:69], v[38:39]
	v_mul_f64 v[68:69], v[110:111], s[16:17]
	s_waitcnt vmcnt(0)
	v_add_f64 v[68:69], v[70:71], v[68:69]
	v_mul_f64 v[70:71], v[173:174], s[20:21]
	s_delay_alu instid0(VALU_DEP_2) | instskip(NEXT) | instid1(VALU_DEP_2)
	v_add_f64 v[44:45], v[68:69], v[44:45]
	v_add_f64 v[70:71], v[70:71], -v[221:222]
	v_mul_f64 v[68:69], v[229:230], s[6:7]
	s_delay_alu instid0(VALU_DEP_3) | instskip(SKIP_1) | instid1(VALU_DEP_3)
	v_add_f64 v[38:39], v[38:39], v[44:45]
	v_add_f64 v[44:45], v[76:77], v[46:47]
	v_add_f64 v[68:69], v[68:69], -v[139:140]
	v_mul_f64 v[46:47], v[120:121], s[22:23]
	scratch_load_b64 v[76:77], off, off offset:416 ; 8-byte Folded Reload
	v_add_f64 v[36:37], v[36:37], v[38:39]
	v_add_f64 v[38:39], v[70:71], v[44:45]
	v_mul_f64 v[44:45], v[118:119], s[22:23]
	v_add_f64 v[46:47], v[181:182], v[46:47]
	v_mul_f64 v[70:71], v[153:154], s[8:9]
	v_add_f64 v[36:37], v[80:81], v[36:37]
	v_add_f64 v[38:39], v[82:83], v[38:39]
	v_add_f64 v[44:45], v[44:45], -v[179:180]
	scratch_load_b64 v[80:81], off, off offset:224 ; 8-byte Folded Reload
	v_add_f64 v[70:71], v[207:208], v[70:71]
	v_mul_f64 v[82:83], v[201:202], s[20:21]
	v_add_f64 v[36:37], v[84:85], v[36:37]
	v_add_f64 v[38:39], v[68:69], v[38:39]
	v_mul_f64 v[68:69], v[151:152], s[8:9]
	v_mul_f64 v[84:85], v[231:232], s[16:17]
	v_add_f64 v[82:83], v[82:83], -v[245:246]
	v_add_f64 v[36:37], v[46:47], v[36:37]
	v_add_f64 v[44:45], v[44:45], v[38:39]
	v_add_f64 v[68:69], v[68:69], -v[205:206]
	scratch_load_b64 v[46:47], off, off offset:424 ; 8-byte Folded Reload
	v_add_f64 v[84:85], v[137:138], v[84:85]
	v_add_f64 v[38:39], v[70:71], v[36:37]
	scratch_load_b64 v[70:71], off, off offset:232 ; 8-byte Folded Reload
	v_add_f64 v[36:37], v[68:69], v[44:45]
	scratch_load_b64 v[68:69], off, off offset:328 ; 8-byte Folded Reload
	v_mul_f64 v[44:45], v[177:178], s[22:23]
	s_waitcnt vmcnt(2)
	s_delay_alu instid0(VALU_DEP_1) | instskip(SKIP_2) | instid1(VALU_DEP_1)
	v_add_f64 v[44:45], v[46:47], v[44:45]
	v_mul_f64 v[46:47], v[149:150], s[18:19]
	s_waitcnt vmcnt(0)
	v_add_f64 v[46:47], v[68:69], v[46:47]
	v_mul_f64 v[68:69], v[110:111], s[10:11]
	s_delay_alu instid0(VALU_DEP_1) | instskip(SKIP_1) | instid1(VALU_DEP_2)
	v_add_f64 v[68:69], v[70:71], v[68:69]
	v_mul_f64 v[70:71], v[173:174], s[22:23]
	v_add_f64 v[56:57], v[68:69], v[56:57]
	s_delay_alu instid0(VALU_DEP_2) | instskip(SKIP_2) | instid1(VALU_DEP_4)
	v_add_f64 v[70:71], v[70:71], -v[76:77]
	v_mul_f64 v[76:77], v[145:146], s[18:19]
	v_mul_f64 v[68:69], v[229:230], s[16:17]
	v_add_f64 v[46:47], v[46:47], v[56:57]
	s_delay_alu instid0(VALU_DEP_3) | instskip(SKIP_1) | instid1(VALU_DEP_4)
	v_add_f64 v[76:77], v[76:77], -v[78:79]
	v_mul_f64 v[78:79], v[108:109], s[10:11]
	v_add_f64 v[68:69], v[68:69], -v[135:136]
	s_delay_alu instid0(VALU_DEP_4) | instskip(NEXT) | instid1(VALU_DEP_3)
	v_add_f64 v[44:45], v[44:45], v[46:47]
	v_add_f64 v[78:79], v[78:79], -v[80:81]
	v_mul_f64 v[80:81], v[203:204], s[20:21]
	s_delay_alu instid0(VALU_DEP_2) | instskip(NEXT) | instid1(VALU_DEP_2)
	v_add_f64 v[58:59], v[78:79], v[58:59]
	v_add_f64 v[80:81], v[247:248], v[80:81]
	scratch_load_b64 v[78:79], off, off offset:304 ; 8-byte Folded Reload
	v_add_f64 v[56:57], v[76:77], v[58:59]
	v_mul_f64 v[58:59], v[120:121], s[8:9]
	v_add_f64 v[44:45], v[80:81], v[44:45]
	s_clause 0x1
	scratch_load_b64 v[76:77], off, off offset:400
	scratch_load_b64 v[80:81], off, off offset:208
	v_add_f64 v[46:47], v[70:71], v[56:57]
	v_mul_f64 v[56:57], v[118:119], s[8:9]
	v_add_f64 v[58:59], v[169:170], v[58:59]
	v_mul_f64 v[70:71], v[153:154], s[4:5]
	v_add_f64 v[44:45], v[84:85], v[44:45]
	v_mul_f64 v[84:85], v[231:232], s[4:5]
	v_add_f64 v[46:47], v[82:83], v[46:47]
	v_add_f64 v[56:57], v[56:57], -v[167:168]
	v_mul_f64 v[82:83], v[201:202], s[6:7]
	v_add_f64 v[70:71], v[185:186], v[70:71]
	v_add_f64 v[44:45], v[58:59], v[44:45]
	scratch_load_b64 v[58:59], off, off offset:408 ; 8-byte Folded Reload
	v_add_f64 v[84:85], v[133:134], v[84:85]
	v_add_f64 v[46:47], v[68:69], v[46:47]
	v_mul_f64 v[68:69], v[151:152], s[4:5]
	v_add_f64 v[82:83], v[82:83], -v[241:242]
	s_delay_alu instid0(VALU_DEP_3) | instskip(NEXT) | instid1(VALU_DEP_3)
	v_add_f64 v[56:57], v[56:57], v[46:47]
	v_add_f64 v[68:69], v[68:69], -v[183:184]
	v_add_f64 v[46:47], v[70:71], v[44:45]
	scratch_load_b64 v[70:71], off, off offset:216 ; 8-byte Folded Reload
	v_add_f64 v[44:45], v[68:69], v[56:57]
	scratch_load_b64 v[68:69], off, off offset:312 ; 8-byte Folded Reload
	v_mul_f64 v[56:57], v[177:178], s[16:17]
	s_waitcnt vmcnt(2)
	s_delay_alu instid0(VALU_DEP_1) | instskip(SKIP_2) | instid1(VALU_DEP_1)
	v_add_f64 v[56:57], v[58:59], v[56:57]
	v_mul_f64 v[58:59], v[149:150], s[22:23]
	s_waitcnt vmcnt(0)
	v_add_f64 v[58:59], v[68:69], v[58:59]
	v_mul_f64 v[68:69], v[110:111], s[18:19]
	s_delay_alu instid0(VALU_DEP_1) | instskip(SKIP_1) | instid1(VALU_DEP_2)
	v_add_f64 v[68:69], v[70:71], v[68:69]
	v_mul_f64 v[70:71], v[173:174], s[16:17]
	v_add_f64 v[48:49], v[68:69], v[48:49]
	s_delay_alu instid0(VALU_DEP_2) | instskip(SKIP_2) | instid1(VALU_DEP_4)
	v_add_f64 v[70:71], v[70:71], -v[76:77]
	v_mul_f64 v[76:77], v[145:146], s[22:23]
	v_mul_f64 v[68:69], v[229:230], s[4:5]
	v_add_f64 v[48:49], v[58:59], v[48:49]
	v_mul_f64 v[58:59], v[120:121], s[10:11]
	s_delay_alu instid0(VALU_DEP_4)
	v_add_f64 v[76:77], v[76:77], -v[78:79]
	v_mul_f64 v[78:79], v[108:109], s[18:19]
	v_add_f64 v[68:69], v[68:69], -v[131:132]
	v_add_f64 v[48:49], v[56:57], v[48:49]
	v_mul_f64 v[56:57], v[118:119], s[10:11]
	v_add_f64 v[58:59], v[165:166], v[58:59]
	v_add_f64 v[78:79], v[78:79], -v[80:81]
	v_mul_f64 v[80:81], v[203:204], s[6:7]
	s_delay_alu instid0(VALU_DEP_4) | instskip(NEXT) | instid1(VALU_DEP_3)
	v_add_f64 v[56:57], v[56:57], -v[163:164]
	v_add_f64 v[50:51], v[78:79], v[50:51]
	s_delay_alu instid0(VALU_DEP_3)
	v_add_f64 v[80:81], v[243:244], v[80:81]
	scratch_load_b64 v[78:79], off, off offset:288 ; 8-byte Folded Reload
	v_add_f64 v[50:51], v[76:77], v[50:51]
	v_add_f64 v[48:49], v[80:81], v[48:49]
	s_clause 0x1
	scratch_load_b64 v[76:77], off, off offset:384
	scratch_load_b64 v[80:81], off, off offset:184
	v_add_f64 v[50:51], v[70:71], v[50:51]
	v_mul_f64 v[70:71], v[153:154], s[20:21]
	v_add_f64 v[48:49], v[84:85], v[48:49]
	v_mul_f64 v[84:85], v[231:232], s[20:21]
	s_delay_alu instid0(VALU_DEP_4) | instskip(NEXT) | instid1(VALU_DEP_4)
	v_add_f64 v[50:51], v[82:83], v[50:51]
	v_add_f64 v[70:71], v[189:190], v[70:71]
	s_delay_alu instid0(VALU_DEP_4)
	v_add_f64 v[48:49], v[58:59], v[48:49]
	scratch_load_b64 v[58:59], off, off offset:392 ; 8-byte Folded Reload
	v_mul_f64 v[82:83], v[201:202], s[8:9]
	v_add_f64 v[84:85], v[129:130], v[84:85]
	v_add_f64 v[50:51], v[68:69], v[50:51]
	v_mul_f64 v[68:69], v[151:152], s[20:21]
	s_delay_alu instid0(VALU_DEP_4) | instskip(NEXT) | instid1(VALU_DEP_3)
	v_add_f64 v[82:83], v[82:83], -v[237:238]
	v_add_f64 v[56:57], v[56:57], v[50:51]
	s_delay_alu instid0(VALU_DEP_3)
	v_add_f64 v[68:69], v[68:69], -v[187:188]
	v_add_f64 v[50:51], v[70:71], v[48:49]
	scratch_load_b64 v[70:71], off, off offset:192 ; 8-byte Folded Reload
	v_add_f64 v[48:49], v[68:69], v[56:57]
	scratch_load_b64 v[68:69], off, off offset:296 ; 8-byte Folded Reload
	v_mul_f64 v[56:57], v[177:178], s[4:5]
	s_waitcnt vmcnt(2)
	s_delay_alu instid0(VALU_DEP_1) | instskip(SKIP_2) | instid1(VALU_DEP_1)
	v_add_f64 v[56:57], v[58:59], v[56:57]
	v_mul_f64 v[58:59], v[149:150], s[16:17]
	s_waitcnt vmcnt(0)
	v_add_f64 v[58:59], v[68:69], v[58:59]
	v_mul_f64 v[68:69], v[110:111], s[22:23]
	s_delay_alu instid0(VALU_DEP_1) | instskip(SKIP_1) | instid1(VALU_DEP_2)
	v_add_f64 v[68:69], v[70:71], v[68:69]
	v_mul_f64 v[70:71], v[173:174], s[4:5]
	v_add_f64 v[52:53], v[68:69], v[52:53]
	s_delay_alu instid0(VALU_DEP_2) | instskip(SKIP_2) | instid1(VALU_DEP_4)
	v_add_f64 v[70:71], v[70:71], -v[76:77]
	v_mul_f64 v[76:77], v[145:146], s[16:17]
	v_mul_f64 v[68:69], v[229:230], s[20:21]
	v_add_f64 v[52:53], v[58:59], v[52:53]
	v_mul_f64 v[58:59], v[120:121], s[18:19]
	s_delay_alu instid0(VALU_DEP_4)
	v_add_f64 v[76:77], v[76:77], -v[78:79]
	v_mul_f64 v[78:79], v[108:109], s[22:23]
	v_add_f64 v[68:69], v[68:69], -v[126:127]
	v_add_f64 v[52:53], v[56:57], v[52:53]
	v_mul_f64 v[56:57], v[118:119], s[18:19]
	v_add_f64 v[58:59], v[161:162], v[58:59]
	v_add_f64 v[78:79], v[78:79], -v[80:81]
	v_mul_f64 v[80:81], v[203:204], s[8:9]
	s_delay_alu instid0(VALU_DEP_4) | instskip(NEXT) | instid1(VALU_DEP_3)
	v_add_f64 v[56:57], v[56:57], -v[159:160]
	v_add_f64 v[54:55], v[78:79], v[54:55]
	s_delay_alu instid0(VALU_DEP_3)
	v_add_f64 v[80:81], v[239:240], v[80:81]
	scratch_load_b64 v[78:79], off, off offset:272 ; 8-byte Folded Reload
	v_add_f64 v[54:55], v[76:77], v[54:55]
	v_add_f64 v[52:53], v[80:81], v[52:53]
	s_clause 0x1
	scratch_load_b64 v[76:77], off, off offset:368
	scratch_load_b64 v[80:81], off, off offset:160
	v_add_f64 v[54:55], v[70:71], v[54:55]
	v_mul_f64 v[70:71], v[153:154], s[6:7]
	v_add_f64 v[52:53], v[84:85], v[52:53]
	v_mul_f64 v[84:85], v[231:232], s[10:11]
	s_delay_alu instid0(VALU_DEP_4) | instskip(NEXT) | instid1(VALU_DEP_4)
	v_add_f64 v[54:55], v[82:83], v[54:55]
	v_add_f64 v[70:71], v[193:194], v[70:71]
	s_delay_alu instid0(VALU_DEP_4)
	v_add_f64 v[52:53], v[58:59], v[52:53]
	scratch_load_b64 v[58:59], off, off offset:376 ; 8-byte Folded Reload
	v_mul_f64 v[82:83], v[201:202], s[22:23]
	v_add_f64 v[84:85], v[124:125], v[84:85]
	v_add_f64 v[54:55], v[68:69], v[54:55]
	v_mul_f64 v[68:69], v[151:152], s[6:7]
	s_delay_alu instid0(VALU_DEP_4) | instskip(NEXT) | instid1(VALU_DEP_3)
	v_add_f64 v[82:83], v[82:83], -v[233:234]
	v_add_f64 v[56:57], v[56:57], v[54:55]
	s_delay_alu instid0(VALU_DEP_3)
	v_add_f64 v[68:69], v[68:69], -v[191:192]
	v_add_f64 v[54:55], v[70:71], v[52:53]
	scratch_load_b64 v[70:71], off, off offset:176 ; 8-byte Folded Reload
	v_add_f64 v[52:53], v[68:69], v[56:57]
	scratch_load_b64 v[68:69], off, off offset:280 ; 8-byte Folded Reload
	v_mul_f64 v[56:57], v[177:178], s[8:9]
	s_waitcnt vmcnt(2)
	s_delay_alu instid0(VALU_DEP_1) | instskip(SKIP_2) | instid1(VALU_DEP_1)
	v_add_f64 v[56:57], v[58:59], v[56:57]
	v_mul_f64 v[58:59], v[149:150], s[6:7]
	s_waitcnt vmcnt(0)
	v_add_f64 v[58:59], v[68:69], v[58:59]
	v_mul_f64 v[68:69], v[110:111], s[20:21]
	s_delay_alu instid0(VALU_DEP_1) | instskip(SKIP_1) | instid1(VALU_DEP_2)
	v_add_f64 v[68:69], v[70:71], v[68:69]
	v_mul_f64 v[70:71], v[173:174], s[8:9]
	v_add_f64 v[68:69], v[68:69], v[72:73]
	s_delay_alu instid0(VALU_DEP_2) | instskip(SKIP_1) | instid1(VALU_DEP_3)
	v_add_f64 v[70:71], v[70:71], -v[76:77]
	v_mul_f64 v[76:77], v[145:146], s[6:7]
	v_add_f64 v[58:59], v[58:59], v[68:69]
	s_delay_alu instid0(VALU_DEP_2) | instskip(SKIP_1) | instid1(VALU_DEP_3)
	v_add_f64 v[76:77], v[76:77], -v[78:79]
	v_mul_f64 v[78:79], v[108:109], s[20:21]
	v_add_f64 v[56:57], v[56:57], v[58:59]
	s_delay_alu instid0(VALU_DEP_2) | instskip(SKIP_1) | instid1(VALU_DEP_2)
	v_add_f64 v[78:79], v[78:79], -v[80:81]
	v_mul_f64 v[80:81], v[203:204], s[22:23]
	v_add_f64 v[72:73], v[78:79], v[74:75]
	s_delay_alu instid0(VALU_DEP_2)
	v_add_f64 v[80:81], v[218:219], v[80:81]
	v_mul_f64 v[74:75], v[229:230], s[10:11]
	scratch_load_b64 v[78:79], off, off offset:256 ; 8-byte Folded Reload
	v_add_f64 v[68:69], v[76:77], v[72:73]
	v_mul_f64 v[72:73], v[120:121], s[4:5]
	v_add_f64 v[56:57], v[80:81], v[56:57]
	v_add_f64 v[74:75], v[74:75], -v[122:123]
	s_clause 0x1
	scratch_load_b64 v[76:77], off, off offset:144
	scratch_load_b64 v[80:81], off, off offset:352
	v_add_f64 v[58:59], v[70:71], v[68:69]
	v_add_f64 v[72:73], v[157:158], v[72:73]
	v_mul_f64 v[68:69], v[118:119], s[4:5]
	v_mul_f64 v[70:71], v[153:154], s[18:19]
	v_add_f64 v[56:57], v[84:85], v[56:57]
	v_mul_f64 v[84:85], v[231:232], s[18:19]
	v_add_f64 v[58:59], v[82:83], v[58:59]
	v_mul_f64 v[82:83], v[201:202], s[16:17]
	v_add_f64 v[68:69], v[68:69], -v[155:156]
	v_add_f64 v[70:71], v[197:198], v[70:71]
	v_add_f64 v[56:57], v[72:73], v[56:57]
	scratch_load_b64 v[72:73], off, off offset:264 ; 8-byte Folded Reload
	v_add_f64 v[84:85], v[116:117], v[84:85]
	v_add_f64 v[58:59], v[74:75], v[58:59]
	v_mul_f64 v[74:75], v[151:152], s[18:19]
	v_add_f64 v[82:83], v[82:83], -v[223:224]
	s_delay_alu instid0(VALU_DEP_3) | instskip(SKIP_3) | instid1(VALU_DEP_1)
	v_add_f64 v[68:69], v[68:69], v[58:59]
	v_add_f64 v[58:59], v[70:71], v[56:57]
	scratch_load_b64 v[70:71], off, off offset:360 ; 8-byte Folded Reload
	v_add_f64 v[74:75], v[74:75], -v[195:196]
	v_add_f64 v[56:57], v[74:75], v[68:69]
	scratch_load_b64 v[74:75], off, off offset:152 ; 8-byte Folded Reload
	v_mul_f64 v[68:69], v[177:178], s[10:11]
	s_waitcnt vmcnt(1)
	s_delay_alu instid0(VALU_DEP_1) | instskip(SKIP_1) | instid1(VALU_DEP_1)
	v_add_f64 v[68:69], v[70:71], v[68:69]
	v_mul_f64 v[70:71], v[149:150], s[8:9]
	v_add_f64 v[70:71], v[72:73], v[70:71]
	v_mul_f64 v[72:73], v[110:111], s[6:7]
	s_waitcnt vmcnt(0)
	s_delay_alu instid0(VALU_DEP_1) | instskip(SKIP_1) | instid1(VALU_DEP_2)
	v_add_f64 v[72:73], v[74:75], v[72:73]
	v_mul_f64 v[74:75], v[108:109], s[6:7]
	v_add_f64 v[64:65], v[72:73], v[64:65]
	s_delay_alu instid0(VALU_DEP_2) | instskip(SKIP_2) | instid1(VALU_DEP_4)
	v_add_f64 v[74:75], v[74:75], -v[76:77]
	v_mul_f64 v[76:77], v[145:146], s[8:9]
	v_mul_f64 v[72:73], v[229:230], s[18:19]
	v_add_f64 v[64:65], v[70:71], v[64:65]
	s_delay_alu instid0(VALU_DEP_4) | instskip(NEXT) | instid1(VALU_DEP_4)
	v_add_f64 v[66:67], v[74:75], v[66:67]
	v_add_f64 v[76:77], v[76:77], -v[78:79]
	v_mul_f64 v[78:79], v[173:174], s[10:11]
	v_add_f64 v[72:73], v[72:73], -v[251:252]
	v_mul_f64 v[70:71], v[120:121], s[20:21]
	v_mul_f64 v[74:75], v[153:154], s[22:23]
	v_add_f64 v[64:65], v[68:69], v[64:65]
	v_mul_f64 v[68:69], v[118:119], s[20:21]
	v_add_f64 v[66:67], v[76:77], v[66:67]
	v_add_f64 v[78:79], v[78:79], -v[80:81]
	v_mul_f64 v[80:81], v[203:204], s[16:17]
	v_add_f64 v[70:71], v[147:148], v[70:71]
	v_add_f64 v[74:75], v[175:176], v[74:75]
	v_add_f64 v[68:69], v[68:69], -v[141:142]
	v_add_f64 v[66:67], v[78:79], v[66:67]
	v_add_f64 v[80:81], v[225:226], v[80:81]
	s_delay_alu instid0(VALU_DEP_2) | instskip(NEXT) | instid1(VALU_DEP_2)
	v_add_f64 v[66:67], v[82:83], v[66:67]
	v_add_f64 v[64:65], v[80:81], v[64:65]
	s_delay_alu instid0(VALU_DEP_2) | instskip(NEXT) | instid1(VALU_DEP_2)
	v_add_f64 v[66:67], v[72:73], v[66:67]
	v_add_f64 v[64:65], v[84:85], v[64:65]
	v_mul_f64 v[72:73], v[151:152], s[22:23]
	s_delay_alu instid0(VALU_DEP_3) | instskip(NEXT) | instid1(VALU_DEP_3)
	v_add_f64 v[68:69], v[68:69], v[66:67]
	v_add_f64 v[64:65], v[70:71], v[64:65]
	s_delay_alu instid0(VALU_DEP_3) | instskip(NEXT) | instid1(VALU_DEP_2)
	v_add_f64 v[72:73], v[72:73], -v[171:172]
	v_add_f64 v[66:67], v[74:75], v[64:65]
	s_delay_alu instid0(VALU_DEP_2) | instskip(SKIP_1) | instid1(VALU_DEP_1)
	v_add_f64 v[64:65], v[72:73], v[68:69]
	v_and_b32_e32 v68, 0xffff, v199
	v_lshlrev_b32_e32 v68, 4, v68
	ds_store_b128 v68, v[44:47] offset:32
	ds_store_b128 v68, v[48:51] offset:48
	;; [unrolled: 1-line block ×6, first 2 shown]
	ds_store_b128 v68, v[40:43]
	ds_store_b128 v68, v[32:35] offset:128
	ds_store_b128 v68, v[60:63] offset:144
	;; [unrolled: 1-line block ×10, first 2 shown]
.LBB0_7:
	s_or_b32 exec_lo, exec_lo, s24
	v_and_b32_e32 v36, 0xff, v217
	s_load_b128 s[4:7], s[2:3], 0x0
	s_waitcnt lgkmcnt(0)
	s_barrier
	buffer_gl0_inv
	v_mul_lo_u16 v36, 0xf1, v36
	s_mov_b32 s8, 0x37e14327
	s_mov_b32 s10, 0xe976ee23
	;; [unrolled: 1-line block ×4, first 2 shown]
	v_lshrrev_b16 v36, 12, v36
	s_mov_b32 s2, 0x429ad128
	s_mov_b32 s3, 0x3febfeb5
	;; [unrolled: 1-line block ×4, first 2 shown]
	v_mul_lo_u16 v37, v36, 17
	s_mov_b32 s18, 0xaaaaaaaa
	s_mov_b32 s24, 0xb247c609
	;; [unrolled: 1-line block ×4, first 2 shown]
	v_sub_nc_u16 v37, v217, v37
	s_mov_b32 s25, 0x3fd5d0dc
	s_mov_b32 s21, 0x3fe77f67
	;; [unrolled: 1-line block ×4, first 2 shown]
	v_and_b32_e32 v37, 0xff, v37
	s_mov_b32 s22, s20
	s_mov_b32 s26, s24
	;; [unrolled: 1-line block ×4, first 2 shown]
	v_mul_u32_u24_e32 v38, 6, v37
	v_and_b32_e32 v36, 0xffff, v36
	s_delay_alu instid0(VALU_DEP_2) | instskip(NEXT) | instid1(VALU_DEP_2)
	v_lshlrev_b32_e32 v38, 4, v38
	v_mul_u32_u24_e32 v36, 0x77, v36
	s_clause 0x5
	global_load_b128 v[52:55], v38, s[0:1]
	global_load_b128 v[48:51], v38, s[0:1] offset:16
	global_load_b128 v[56:59], v38, s[0:1] offset:80
	;; [unrolled: 1-line block ×5, first 2 shown]
	ds_load_b128 v[64:67], v236 offset:1904
	ds_load_b128 v[68:71], v236 offset:3808
	;; [unrolled: 1-line block ×6, first 2 shown]
	v_add_lshl_u32 v237, v36, v37, 4
	s_waitcnt vmcnt(5) lgkmcnt(5)
	v_mul_f64 v[88:89], v[66:67], v[54:55]
	v_mul_f64 v[90:91], v[64:65], v[54:55]
	s_waitcnt vmcnt(4) lgkmcnt(4)
	v_mul_f64 v[92:93], v[70:71], v[50:51]
	v_mul_f64 v[94:95], v[68:69], v[50:51]
	;; [unrolled: 3-line block ×6, first 2 shown]
	v_fma_f64 v[64:65], v[64:65], v[52:53], -v[88:89]
	v_fma_f64 v[66:67], v[66:67], v[52:53], v[90:91]
	v_fma_f64 v[68:69], v[68:69], v[48:49], -v[92:93]
	v_fma_f64 v[70:71], v[70:71], v[48:49], v[94:95]
	;; [unrolled: 2-line block ×6, first 2 shown]
	v_add_f64 v[88:89], v[64:65], v[72:73]
	v_add_f64 v[90:91], v[66:67], v[74:75]
	;; [unrolled: 1-line block ×4, first 2 shown]
	v_add_f64 v[68:69], v[68:69], -v[76:77]
	v_add_f64 v[70:71], v[70:71], -v[78:79]
	v_add_f64 v[76:77], v[80:81], v[84:85]
	v_add_f64 v[78:79], v[82:83], v[86:87]
	v_add_f64 v[80:81], v[84:85], -v[80:81]
	v_add_f64 v[82:83], v[86:87], -v[82:83]
	;; [unrolled: 1-line block ×4, first 2 shown]
	v_add_f64 v[64:65], v[92:93], v[88:89]
	v_add_f64 v[66:67], v[94:95], v[90:91]
	v_add_f64 v[84:85], v[88:89], -v[76:77]
	v_add_f64 v[86:87], v[90:91], -v[78:79]
	;; [unrolled: 1-line block ×6, first 2 shown]
	v_add_f64 v[68:69], v[80:81], v[68:69]
	v_add_f64 v[70:71], v[82:83], v[70:71]
	v_add_f64 v[80:81], v[72:73], -v[80:81]
	v_add_f64 v[82:83], v[74:75], -v[82:83]
	v_add_f64 v[88:89], v[92:93], -v[88:89]
	v_add_f64 v[90:91], v[94:95], -v[90:91]
	v_add_f64 v[104:105], v[76:77], v[64:65]
	v_add_f64 v[106:107], v[78:79], v[66:67]
	v_add_f64 v[76:77], v[76:77], -v[92:93]
	v_add_f64 v[78:79], v[78:79], -v[94:95]
	ds_load_b128 v[64:67], v236
	v_mul_f64 v[84:85], v[84:85], s[8:9]
	v_mul_f64 v[86:87], v[86:87], s[8:9]
	;; [unrolled: 1-line block ×6, first 2 shown]
	v_add_f64 v[68:69], v[68:69], v[72:73]
	v_add_f64 v[70:71], v[70:71], v[74:75]
	s_waitcnt lgkmcnt(0)
	s_barrier
	buffer_gl0_inv
	v_add_f64 v[64:65], v[64:65], v[104:105]
	v_add_f64 v[66:67], v[66:67], v[106:107]
	v_mul_f64 v[92:93], v[76:77], s[16:17]
	v_mul_f64 v[94:95], v[78:79], s[16:17]
	v_fma_f64 v[72:73], v[76:77], s[16:17], v[84:85]
	v_fma_f64 v[74:75], v[78:79], s[16:17], v[86:87]
	;; [unrolled: 1-line block ×4, first 2 shown]
	v_fma_f64 v[96:97], v[100:101], s[2:3], -v[96:97]
	v_fma_f64 v[98:99], v[102:103], s[2:3], -v[98:99]
	;; [unrolled: 1-line block ×6, first 2 shown]
	v_fma_f64 v[100:101], v[104:105], s[18:19], v[64:65]
	v_fma_f64 v[102:103], v[106:107], s[18:19], v[66:67]
	v_fma_f64 v[88:89], v[88:89], s[20:21], -v[92:93]
	v_fma_f64 v[90:91], v[90:91], s[20:21], -v[94:95]
	v_fma_f64 v[92:93], v[68:69], s[28:29], v[76:77]
	v_fma_f64 v[94:95], v[70:71], s[28:29], v[78:79]
	;; [unrolled: 1-line block ×6, first 2 shown]
	v_add_f64 v[108:109], v[72:73], v[100:101]
	v_add_f64 v[110:111], v[74:75], v[102:103]
	;; [unrolled: 1-line block ×7, first 2 shown]
	v_add_f64 v[70:71], v[110:111], -v[92:93]
	v_add_f64 v[72:73], v[106:107], v[84:85]
	v_add_f64 v[74:75], v[86:87], -v[104:105]
	v_add_f64 v[76:77], v[80:81], -v[98:99]
	v_add_f64 v[78:79], v[96:97], v[82:83]
	v_add_f64 v[80:81], v[98:99], v[80:81]
	v_add_f64 v[82:83], v[82:83], -v[96:97]
	v_add_f64 v[84:85], v[84:85], -v[106:107]
	v_add_f64 v[86:87], v[104:105], v[86:87]
	v_add_f64 v[88:89], v[108:109], -v[94:95]
	v_add_f64 v[90:91], v[92:93], v[110:111]
	v_mad_u64_u32 v[92:93], null, 0x60, v217, s[0:1]
	ds_store_b128 v237, v[64:67]
	ds_store_b128 v237, v[68:71] offset:272
	ds_store_b128 v237, v[72:75] offset:544
	;; [unrolled: 1-line block ×6, first 2 shown]
	s_waitcnt lgkmcnt(0)
	s_barrier
	buffer_gl0_inv
	s_clause 0x5
	global_load_b128 v[68:71], v[92:93], off offset:1632
	global_load_b128 v[64:67], v[92:93], off offset:1648
	global_load_b128 v[72:75], v[92:93], off offset:1712
	global_load_b128 v[84:87], v[92:93], off offset:1696
	global_load_b128 v[80:83], v[92:93], off offset:1664
	global_load_b128 v[76:79], v[92:93], off offset:1680
	ds_load_b128 v[88:91], v236 offset:1904
	ds_load_b128 v[92:95], v236 offset:3808
	;; [unrolled: 1-line block ×6, first 2 shown]
	s_waitcnt vmcnt(5) lgkmcnt(5)
	v_mul_f64 v[112:113], v[90:91], v[70:71]
	v_mul_f64 v[114:115], v[88:89], v[70:71]
	s_waitcnt vmcnt(4) lgkmcnt(4)
	v_mul_f64 v[116:117], v[94:95], v[66:67]
	v_mul_f64 v[118:119], v[92:93], v[66:67]
	;; [unrolled: 3-line block ×6, first 2 shown]
	v_fma_f64 v[88:89], v[88:89], v[68:69], -v[112:113]
	v_fma_f64 v[90:91], v[90:91], v[68:69], v[114:115]
	v_fma_f64 v[92:93], v[92:93], v[64:65], -v[116:117]
	v_fma_f64 v[94:95], v[94:95], v[64:65], v[118:119]
	v_fma_f64 v[96:97], v[96:97], v[72:73], -v[120:121]
	v_fma_f64 v[98:99], v[98:99], v[72:73], v[122:123]
	v_fma_f64 v[100:101], v[100:101], v[84:85], -v[124:125]
	v_fma_f64 v[102:103], v[102:103], v[84:85], v[126:127]
	v_fma_f64 v[104:105], v[104:105], v[80:81], -v[129:130]
	v_fma_f64 v[106:107], v[106:107], v[80:81], v[132:133]
	v_fma_f64 v[108:109], v[108:109], v[76:77], -v[134:135]
	v_fma_f64 v[110:111], v[110:111], v[76:77], v[136:137]
	v_add_f64 v[112:113], v[88:89], v[96:97]
	v_add_f64 v[114:115], v[90:91], v[98:99]
	;; [unrolled: 1-line block ×4, first 2 shown]
	v_add_f64 v[92:93], v[92:93], -v[100:101]
	v_add_f64 v[94:95], v[94:95], -v[102:103]
	v_add_f64 v[100:101], v[104:105], v[108:109]
	v_add_f64 v[102:103], v[106:107], v[110:111]
	v_add_f64 v[104:105], v[108:109], -v[104:105]
	v_add_f64 v[106:107], v[110:111], -v[106:107]
	;; [unrolled: 1-line block ×4, first 2 shown]
	v_add_f64 v[88:89], v[116:117], v[112:113]
	v_add_f64 v[90:91], v[118:119], v[114:115]
	v_add_f64 v[108:109], v[112:113], -v[100:101]
	v_add_f64 v[110:111], v[114:115], -v[102:103]
	;; [unrolled: 1-line block ×6, first 2 shown]
	v_add_f64 v[92:93], v[104:105], v[92:93]
	v_add_f64 v[94:95], v[106:107], v[94:95]
	v_add_f64 v[104:105], v[96:97], -v[104:105]
	v_add_f64 v[106:107], v[98:99], -v[106:107]
	;; [unrolled: 1-line block ×4, first 2 shown]
	v_add_f64 v[129:130], v[100:101], v[88:89]
	v_add_f64 v[132:133], v[102:103], v[90:91]
	v_add_f64 v[100:101], v[100:101], -v[116:117]
	v_add_f64 v[102:103], v[102:103], -v[118:119]
	ds_load_b128 v[88:91], v236
	v_mul_f64 v[108:109], v[108:109], s[8:9]
	v_mul_f64 v[110:111], v[110:111], s[8:9]
	;; [unrolled: 1-line block ×6, first 2 shown]
	v_add_f64 v[92:93], v[92:93], v[96:97]
	v_add_f64 v[94:95], v[94:95], v[98:99]
	s_waitcnt lgkmcnt(0)
	v_add_f64 v[88:89], v[88:89], v[129:130]
	v_add_f64 v[90:91], v[90:91], v[132:133]
	v_mul_f64 v[116:117], v[100:101], s[16:17]
	v_mul_f64 v[118:119], v[102:103], s[16:17]
	v_fma_f64 v[96:97], v[100:101], s[16:17], v[108:109]
	v_fma_f64 v[98:99], v[102:103], s[16:17], v[110:111]
	;; [unrolled: 1-line block ×4, first 2 shown]
	v_fma_f64 v[120:121], v[124:125], s[2:3], -v[120:121]
	v_fma_f64 v[122:123], v[126:127], s[2:3], -v[122:123]
	;; [unrolled: 1-line block ×6, first 2 shown]
	v_fma_f64 v[124:125], v[129:130], s[18:19], v[88:89]
	v_fma_f64 v[126:127], v[132:133], s[18:19], v[90:91]
	v_fma_f64 v[112:113], v[112:113], s[20:21], -v[116:117]
	v_fma_f64 v[114:115], v[114:115], s[20:21], -v[118:119]
	v_fma_f64 v[116:117], v[92:93], s[28:29], v[100:101]
	v_fma_f64 v[118:119], v[94:95], s[28:29], v[102:103]
	;; [unrolled: 1-line block ×6, first 2 shown]
	v_add_f64 v[134:135], v[96:97], v[124:125]
	v_add_f64 v[136:137], v[98:99], v[126:127]
	v_add_f64 v[108:109], v[108:109], v[124:125]
	v_add_f64 v[110:111], v[110:111], v[126:127]
	v_add_f64 v[104:105], v[112:113], v[124:125]
	v_add_f64 v[106:107], v[114:115], v[126:127]
	v_add_f64 v[92:93], v[118:119], v[134:135]
	v_add_f64 v[94:95], v[136:137], -v[116:117]
	v_add_f64 v[96:97], v[132:133], v[108:109]
	v_add_f64 v[98:99], v[110:111], -v[129:130]
	v_add_f64 v[100:101], v[104:105], -v[122:123]
	v_add_f64 v[102:103], v[120:121], v[106:107]
	v_add_f64 v[104:105], v[122:123], v[104:105]
	v_add_f64 v[106:107], v[106:107], -v[120:121]
	v_add_f64 v[108:109], v[108:109], -v[132:133]
	v_add_f64 v[110:111], v[129:130], v[110:111]
	v_add_f64 v[112:113], v[134:135], -v[118:119]
	v_add_f64 v[114:115], v[116:117], v[136:137]
	ds_store_b128 v236, v[88:91]
	ds_store_b128 v236, v[92:95] offset:1904
	ds_store_b128 v236, v[96:99] offset:3808
	;; [unrolled: 1-line block ×6, first 2 shown]
	s_waitcnt lgkmcnt(0)
	s_barrier
	buffer_gl0_inv
	s_and_saveexec_b32 s1, vcc_lo
	s_cbranch_execz .LBB0_9
; %bb.8:
	v_add_co_u32 v132, s0, s12, v236
	s_delay_alu instid0(VALU_DEP_1) | instskip(NEXT) | instid1(VALU_DEP_2)
	v_add_co_ci_u32_e64 v133, null, s13, 0, s0
	v_add_co_u32 v116, s0, 0x3000, v132
	s_delay_alu instid0(VALU_DEP_1) | instskip(SKIP_1) | instid1(VALU_DEP_1)
	v_add_co_ci_u32_e64 v117, s0, 0, v133, s0
	v_add_co_u32 v129, s0, 0x3410, v132
	v_add_co_ci_u32_e64 v130, s0, 0, v133, s0
	global_load_b128 v[116:119], v[116:117], off offset:1040
	v_add_co_u32 v162, s0, 0x4000, v132
	s_clause 0x4
	global_load_b128 v[120:123], v[129:130], off offset:784
	global_load_b128 v[124:127], v[129:130], off offset:1568
	global_load_b128 v[134:137], v[129:130], off offset:2352
	global_load_b128 v[138:141], v[129:130], off offset:3136
	global_load_b128 v[142:145], v[129:130], off offset:3920
	ds_load_b128 v[146:149], v236
	ds_load_b128 v[150:153], v236 offset:784
	v_add_co_ci_u32_e64 v163, s0, 0, v133, s0
	s_waitcnt vmcnt(4) lgkmcnt(0)
	v_mul_f64 v[154:155], v[152:153], v[122:123]
	v_mul_f64 v[129:130], v[148:149], v[118:119]
	;; [unrolled: 1-line block ×4, first 2 shown]
	s_delay_alu instid0(VALU_DEP_4) | instskip(NEXT) | instid1(VALU_DEP_4)
	v_fma_f64 v[150:151], v[150:151], v[120:121], -v[154:155]
	v_fma_f64 v[146:147], v[146:147], v[116:117], -v[129:130]
	s_delay_alu instid0(VALU_DEP_4)
	v_fma_f64 v[148:149], v[148:149], v[116:117], v[118:119]
	ds_load_b128 v[116:119], v236 offset:1568
	v_fma_f64 v[152:153], v[152:153], v[120:121], v[122:123]
	ds_load_b128 v[120:123], v236 offset:2352
	s_waitcnt vmcnt(3) lgkmcnt(1)
	v_mul_f64 v[129:130], v[118:119], v[126:127]
	v_mul_f64 v[126:127], v[116:117], v[126:127]
	s_waitcnt vmcnt(2) lgkmcnt(0)
	v_mul_f64 v[154:155], v[122:123], v[136:137]
	s_delay_alu instid0(VALU_DEP_3) | instskip(SKIP_1) | instid1(VALU_DEP_4)
	v_fma_f64 v[116:117], v[116:117], v[124:125], -v[129:130]
	v_mul_f64 v[129:130], v[120:121], v[136:137]
	v_fma_f64 v[118:119], v[118:119], v[124:125], v[126:127]
	ds_load_b128 v[124:127], v236 offset:3136
	v_fma_f64 v[120:121], v[120:121], v[134:135], -v[154:155]
	v_fma_f64 v[122:123], v[122:123], v[134:135], v[129:130]
	ds_load_b128 v[134:137], v236 offset:3920
	s_waitcnt vmcnt(1) lgkmcnt(1)
	v_mul_f64 v[129:130], v[126:127], v[140:141]
	v_mul_f64 v[140:141], v[124:125], v[140:141]
	s_delay_alu instid0(VALU_DEP_2) | instskip(NEXT) | instid1(VALU_DEP_2)
	v_fma_f64 v[124:125], v[124:125], v[138:139], -v[129:130]
	v_fma_f64 v[126:127], v[126:127], v[138:139], v[140:141]
	s_waitcnt vmcnt(0) lgkmcnt(0)
	v_mul_f64 v[129:130], v[136:137], v[144:145]
	global_load_b128 v[138:141], v[162:163], off offset:1648
	v_mul_f64 v[144:145], v[134:135], v[144:145]
	v_fma_f64 v[134:135], v[134:135], v[142:143], -v[129:130]
	s_delay_alu instid0(VALU_DEP_2)
	v_fma_f64 v[136:137], v[136:137], v[142:143], v[144:145]
	global_load_b128 v[142:145], v[162:163], off offset:2432
	ds_load_b128 v[154:157], v236 offset:4704
	ds_load_b128 v[158:161], v236 offset:5488
	s_waitcnt vmcnt(1) lgkmcnt(1)
	v_mul_f64 v[129:130], v[156:157], v[140:141]
	v_mul_f64 v[140:141], v[154:155], v[140:141]
	s_delay_alu instid0(VALU_DEP_2) | instskip(NEXT) | instid1(VALU_DEP_2)
	v_fma_f64 v[154:155], v[154:155], v[138:139], -v[129:130]
	v_fma_f64 v[156:157], v[156:157], v[138:139], v[140:141]
	s_waitcnt vmcnt(0) lgkmcnt(0)
	v_mul_f64 v[129:130], v[160:161], v[144:145]
	v_mul_f64 v[140:141], v[158:159], v[144:145]
	s_delay_alu instid0(VALU_DEP_2) | instskip(NEXT) | instid1(VALU_DEP_2)
	v_fma_f64 v[138:139], v[158:159], v[142:143], -v[129:130]
	v_fma_f64 v[140:141], v[160:161], v[142:143], v[140:141]
	s_clause 0x1
	global_load_b128 v[142:145], v[162:163], off offset:3216
	global_load_b128 v[158:161], v[162:163], off offset:4000
	ds_load_b128 v[162:165], v236 offset:6272
	ds_load_b128 v[166:169], v236 offset:7056
	s_waitcnt vmcnt(1) lgkmcnt(1)
	v_mul_f64 v[129:130], v[164:165], v[144:145]
	v_mul_f64 v[144:145], v[162:163], v[144:145]
	s_delay_alu instid0(VALU_DEP_2) | instskip(SKIP_2) | instid1(VALU_DEP_3)
	v_fma_f64 v[162:163], v[162:163], v[142:143], -v[129:130]
	s_waitcnt vmcnt(0) lgkmcnt(0)
	v_mul_f64 v[129:130], v[168:169], v[160:161]
	v_fma_f64 v[164:165], v[164:165], v[142:143], v[144:145]
	v_mul_f64 v[144:145], v[166:167], v[160:161]
	s_delay_alu instid0(VALU_DEP_3) | instskip(SKIP_1) | instid1(VALU_DEP_1)
	v_fma_f64 v[142:143], v[166:167], v[158:159], -v[129:130]
	v_add_co_u32 v129, s0, 0x5000, v132
	v_add_co_ci_u32_e64 v130, s0, 0, v133, s0
	s_delay_alu instid0(VALU_DEP_4)
	v_fma_f64 v[144:145], v[168:169], v[158:159], v[144:145]
	s_clause 0x1
	global_load_b128 v[158:161], v[129:130], off offset:688
	global_load_b128 v[166:169], v[129:130], off offset:1472
	ds_load_b128 v[170:173], v236 offset:7840
	ds_load_b128 v[174:177], v236 offset:8624
	v_add_co_u32 v132, s0, 0x6000, v132
	s_delay_alu instid0(VALU_DEP_1) | instskip(SKIP_3) | instid1(VALU_DEP_2)
	v_add_co_ci_u32_e64 v133, s0, 0, v133, s0
	s_waitcnt vmcnt(1) lgkmcnt(1)
	v_mul_f64 v[178:179], v[172:173], v[160:161]
	v_mul_f64 v[160:161], v[170:171], v[160:161]
	v_fma_f64 v[170:171], v[170:171], v[158:159], -v[178:179]
	s_delay_alu instid0(VALU_DEP_2) | instskip(SKIP_3) | instid1(VALU_DEP_2)
	v_fma_f64 v[172:173], v[172:173], v[158:159], v[160:161]
	s_waitcnt vmcnt(0) lgkmcnt(0)
	v_mul_f64 v[158:159], v[176:177], v[168:169]
	v_mul_f64 v[160:161], v[174:175], v[168:169]
	v_fma_f64 v[158:159], v[174:175], v[166:167], -v[158:159]
	s_delay_alu instid0(VALU_DEP_2)
	v_fma_f64 v[160:161], v[176:177], v[166:167], v[160:161]
	s_clause 0x1
	global_load_b128 v[166:169], v[129:130], off offset:2256
	global_load_b128 v[174:177], v[129:130], off offset:3040
	ds_load_b128 v[178:181], v236 offset:9408
	ds_load_b128 v[182:185], v236 offset:10192
	s_waitcnt vmcnt(1) lgkmcnt(1)
	v_mul_f64 v[186:187], v[180:181], v[168:169]
	v_mul_f64 v[168:169], v[178:179], v[168:169]
	s_delay_alu instid0(VALU_DEP_2) | instskip(NEXT) | instid1(VALU_DEP_2)
	v_fma_f64 v[178:179], v[178:179], v[166:167], -v[186:187]
	v_fma_f64 v[180:181], v[180:181], v[166:167], v[168:169]
	s_waitcnt vmcnt(0) lgkmcnt(0)
	v_mul_f64 v[166:167], v[184:185], v[176:177]
	v_mul_f64 v[168:169], v[182:183], v[176:177]
	s_delay_alu instid0(VALU_DEP_2) | instskip(NEXT) | instid1(VALU_DEP_2)
	v_fma_f64 v[166:167], v[182:183], v[174:175], -v[166:167]
	v_fma_f64 v[168:169], v[184:185], v[174:175], v[168:169]
	s_clause 0x1
	global_load_b128 v[174:177], v[129:130], off offset:3824
	global_load_b128 v[182:185], v[132:133], off offset:512
	ds_load_b128 v[186:189], v236 offset:10976
	ds_load_b128 v[190:193], v236 offset:11760
	s_waitcnt vmcnt(1) lgkmcnt(1)
	v_mul_f64 v[129:130], v[188:189], v[176:177]
	v_mul_f64 v[176:177], v[186:187], v[176:177]
	s_delay_alu instid0(VALU_DEP_2) | instskip(NEXT) | instid1(VALU_DEP_2)
	v_fma_f64 v[186:187], v[186:187], v[174:175], -v[129:130]
	v_fma_f64 v[188:189], v[188:189], v[174:175], v[176:177]
	s_waitcnt vmcnt(0) lgkmcnt(0)
	v_mul_f64 v[129:130], v[192:193], v[184:185]
	v_mul_f64 v[176:177], v[190:191], v[184:185]
	s_delay_alu instid0(VALU_DEP_2) | instskip(NEXT) | instid1(VALU_DEP_2)
	v_fma_f64 v[174:175], v[190:191], v[182:183], -v[129:130]
	v_fma_f64 v[176:177], v[192:193], v[182:183], v[176:177]
	global_load_b128 v[182:185], v[132:133], off offset:1296
	ds_load_b128 v[190:193], v236 offset:12544
	s_waitcnt vmcnt(0) lgkmcnt(0)
	v_mul_f64 v[129:130], v[192:193], v[184:185]
	v_mul_f64 v[132:133], v[190:191], v[184:185]
	s_delay_alu instid0(VALU_DEP_2) | instskip(NEXT) | instid1(VALU_DEP_2)
	v_fma_f64 v[190:191], v[190:191], v[182:183], -v[129:130]
	v_fma_f64 v[192:193], v[192:193], v[182:183], v[132:133]
	ds_store_b128 v236, v[146:149]
	ds_store_b128 v236, v[150:153] offset:784
	ds_store_b128 v236, v[116:119] offset:1568
	;; [unrolled: 1-line block ×16, first 2 shown]
.LBB0_9:
	s_or_b32 exec_lo, exec_lo, s1
	s_waitcnt lgkmcnt(0)
	s_barrier
	buffer_gl0_inv
	s_and_saveexec_b32 s0, vcc_lo
	s_cbranch_execz .LBB0_11
; %bb.10:
	ds_load_b128 v[88:91], v236
	ds_load_b128 v[92:95], v236 offset:784
	ds_load_b128 v[96:99], v236 offset:1568
	;; [unrolled: 1-line block ×16, first 2 shown]
.LBB0_11:
	s_or_b32 exec_lo, exec_lo, s0
	s_waitcnt lgkmcnt(0)
	s_barrier
	buffer_gl0_inv
	s_and_saveexec_b32 s33, vcc_lo
	s_cbranch_execz .LBB0_13
; %bb.12:
	v_add_f64 v[118:119], v[88:89], v[92:93]
	v_add_f64 v[116:117], v[90:91], v[94:95]
	v_add_f64 v[120:121], v[34:35], -v[62:63]
	v_add_f64 v[126:127], v[96:97], -v[4:5]
	s_mov_b32 s24, 0x6c9a05f6
	s_mov_b32 s25, 0xbfe9895b
	;; [unrolled: 1-line block ×34, first 2 shown]
	v_add_f64 v[118:119], v[118:119], v[96:97]
	v_add_f64 v[116:117], v[116:117], v[98:99]
	v_add_f64 v[96:97], v[96:97], v[4:5]
	s_mov_b32 s2, 0x910ea3b9
	s_mov_b32 s0, 0x7faef3
	;; [unrolled: 1-line block ×6, first 2 shown]
	s_clause 0x1
	scratch_store_b128 off, v[194:197], off offset:16
	scratch_store_b32 off, v217, off offset:8
	s_mov_b32 s51, 0x3fe9895b
	s_mov_b32 s50, s24
	;; [unrolled: 1-line block ×4, first 2 shown]
	v_mul_f64 v[210:211], v[126:127], s[24:25]
	scratch_store_b32 off, v199, off offset:288 ; 4-byte Folded Spill
	v_add_f64 v[118:119], v[118:119], v[100:101]
	v_add_f64 v[116:117], v[116:117], v[102:103]
	s_delay_alu instid0(VALU_DEP_2) | instskip(NEXT) | instid1(VALU_DEP_2)
	v_add_f64 v[118:119], v[118:119], v[104:105]
	v_add_f64 v[116:117], v[116:117], v[106:107]
	s_delay_alu instid0(VALU_DEP_2) | instskip(NEXT) | instid1(VALU_DEP_2)
	v_add_f64 v[118:119], v[118:119], v[108:109]
	v_add_f64 v[116:117], v[116:117], v[110:111]
	s_delay_alu instid0(VALU_DEP_2) | instskip(NEXT) | instid1(VALU_DEP_2)
	v_add_f64 v[118:119], v[118:119], v[112:113]
	v_add_f64 v[116:117], v[116:117], v[114:115]
	s_delay_alu instid0(VALU_DEP_2) | instskip(NEXT) | instid1(VALU_DEP_2)
	v_add_f64 v[118:119], v[118:119], v[24:25]
	v_add_f64 v[116:117], v[116:117], v[26:27]
	s_delay_alu instid0(VALU_DEP_2) | instskip(NEXT) | instid1(VALU_DEP_2)
	v_add_f64 v[124:125], v[118:119], v[32:33]
	v_add_f64 v[122:123], v[116:117], v[34:35]
	;; [unrolled: 1-line block ×4, first 2 shown]
	v_add_f64 v[118:119], v[32:33], -v[60:61]
	v_add_f64 v[32:33], v[32:33], v[60:61]
	v_add_f64 v[124:125], v[124:125], v[60:61]
	;; [unrolled: 1-line block ×3, first 2 shown]
	v_add_f64 v[62:63], v[26:27], -v[30:31]
	v_add_f64 v[60:61], v[24:25], -v[28:29]
	v_add_f64 v[24:25], v[24:25], v[28:29]
	v_add_f64 v[26:27], v[112:113], v[20:21]
	v_mul_f64 v[208:209], v[118:119], s[40:41]
	v_mul_f64 v[224:225], v[118:119], s[38:39]
	v_add_f64 v[124:125], v[124:125], v[28:29]
	v_add_f64 v[30:31], v[122:123], v[30:31]
	v_add_f64 v[122:123], v[112:113], -v[20:21]
	v_add_f64 v[28:29], v[114:115], v[22:23]
	v_add_f64 v[112:113], v[114:115], -v[22:23]
	v_add_f64 v[114:115], v[108:109], -v[16:17]
	v_mul_f64 v[182:183], v[60:61], s[38:39]
	v_mul_f64 v[38:39], v[60:61], s[44:45]
	;; [unrolled: 1-line block ×5, first 2 shown]
	v_add_f64 v[124:125], v[124:125], v[20:21]
	v_add_f64 v[30:31], v[30:31], v[22:23]
	;; [unrolled: 1-line block ×4, first 2 shown]
	v_add_f64 v[108:109], v[110:111], -v[18:19]
	v_add_f64 v[110:111], v[104:105], -v[12:13]
	v_mul_f64 v[252:253], v[122:123], s[52:53]
	v_mul_f64 v[198:199], v[112:113], s[52:53]
	;; [unrolled: 1-line block ×7, first 2 shown]
	v_fma_f64 v[46:47], v[34:35], s[8:9], -v[44:45]
	v_fma_f64 v[44:45], v[34:35], s[8:9], v[44:45]
	v_add_f64 v[124:125], v[124:125], v[16:17]
	v_add_f64 v[30:31], v[30:31], v[18:19]
	v_add_f64 v[16:17], v[104:105], v[12:13]
	v_add_f64 v[18:19], v[106:107], v[14:15]
	v_add_f64 v[106:107], v[106:107], -v[14:15]
	v_add_f64 v[104:105], v[102:103], v[10:11]
	v_mul_f64 v[244:245], v[110:111], s[30:31]
	v_mul_f64 v[214:215], v[110:111], s[52:53]
	;; [unrolled: 1-line block ×4, first 2 shown]
	v_fma_f64 v[42:43], v[28:29], s[2:3], -v[40:41]
	v_fma_f64 v[40:41], v[28:29], s[2:3], v[40:41]
	v_add_f64 v[12:13], v[124:125], v[12:13]
	v_add_f64 v[14:15], v[30:31], v[14:15]
	v_add_f64 v[124:125], v[100:101], -v[8:9]
	v_add_f64 v[30:31], v[100:101], v[8:9]
	v_add_f64 v[100:101], v[102:103], -v[10:11]
	v_add_f64 v[102:103], v[98:99], -v[6:7]
	v_add_f64 v[98:99], v[98:99], v[6:7]
	v_mul_f64 v[246:247], v[106:107], s[30:31]
	v_mul_f64 v[188:189], v[106:107], s[40:41]
	v_add_f64 v[8:9], v[12:13], v[8:9]
	v_add_f64 v[10:11], v[14:15], v[10:11]
	;; [unrolled: 1-line block ×4, first 2 shown]
	v_mul_f64 v[240:241], v[124:125], s[24:25]
	v_mul_f64 v[238:239], v[102:103], s[42:43]
	;; [unrolled: 1-line block ×6, first 2 shown]
	v_add_f64 v[4:5], v[8:9], v[4:5]
	v_add_f64 v[8:9], v[92:93], -v[0:1]
	v_add_f64 v[6:7], v[10:11], v[6:7]
	v_add_f64 v[10:11], v[94:95], -v[2:3]
	s_delay_alu instid0(VALU_DEP_4) | instskip(NEXT) | instid1(VALU_DEP_4)
	v_add_f64 v[0:1], v[4:5], v[0:1]
	v_mul_f64 v[92:93], v[8:9], s[24:25]
	s_delay_alu instid0(VALU_DEP_4) | instskip(NEXT) | instid1(VALU_DEP_4)
	v_add_f64 v[2:3], v[6:7], v[2:3]
	v_mul_f64 v[154:155], v[10:11], s[24:25]
	v_mul_f64 v[94:95], v[8:9], s[46:47]
	;; [unrolled: 1-line block ×13, first 2 shown]
	v_fma_f64 v[140:141], v[12:13], s[8:9], v[92:93]
	v_fma_f64 v[92:93], v[12:13], s[8:9], -v[92:93]
	scratch_store_b128 off, v[0:3], off offset:32 ; 16-byte Folded Spill
	v_fma_f64 v[168:169], v[14:15], s[8:9], -v[154:155]
	v_fma_f64 v[154:155], v[14:15], s[8:9], v[154:155]
	v_fma_f64 v[142:143], v[12:13], s[10:11], v[94:95]
	v_fma_f64 v[170:171], v[14:15], s[10:11], -v[156:157]
	v_fma_f64 v[144:145], v[12:13], s[16:17], v[129:130]
	v_fma_f64 v[172:173], v[14:15], s[16:17], -v[158:159]
	v_fma_f64 v[146:147], v[12:13], s[18:19], -v[132:133]
	v_fma_f64 v[132:133], v[12:13], s[18:19], v[132:133]
	v_fma_f64 v[174:175], v[14:15], s[18:19], v[160:161]
	v_fma_f64 v[160:161], v[14:15], s[18:19], -v[160:161]
	v_fma_f64 v[148:149], v[12:13], s[20:21], -v[134:135]
	v_fma_f64 v[134:135], v[12:13], s[20:21], v[134:135]
	v_fma_f64 v[176:177], v[14:15], s[20:21], v[162:163]
	v_fma_f64 v[162:163], v[14:15], s[20:21], -v[162:163]
	v_fma_f64 v[136:137], v[12:13], s[0:1], v[4:5]
	v_fma_f64 v[4:5], v[12:13], s[0:1], -v[4:5]
	;; [unrolled: 2-line block ×3, first 2 shown]
	v_fma_f64 v[94:95], v[12:13], s[10:11], -v[94:95]
	v_fma_f64 v[129:130], v[12:13], s[16:17], -v[129:130]
	;; [unrolled: 1-line block ×3, first 2 shown]
	v_fma_f64 v[8:9], v[12:13], s[22:23], v[8:9]
	v_mul_f64 v[12:13], v[10:11], s[30:31]
	v_mul_f64 v[10:11], v[10:11], s[28:29]
	v_fma_f64 v[166:167], v[14:15], s[2:3], -v[152:153]
	v_fma_f64 v[152:153], v[14:15], s[2:3], v[152:153]
	v_fma_f64 v[156:157], v[14:15], s[10:11], v[156:157]
	;; [unrolled: 1-line block ×3, first 2 shown]
	v_add_f64 v[140:141], v[90:91], v[140:141]
	v_add_f64 v[0:1], v[90:91], v[92:93]
	;; [unrolled: 1-line block ×8, first 2 shown]
	v_mul_f64 v[128:129], v[118:119], s[30:31]
	v_fma_f64 v[164:165], v[14:15], s[0:1], -v[12:13]
	v_fma_f64 v[12:13], v[14:15], s[0:1], v[12:13]
	v_fma_f64 v[178:179], v[14:15], s[22:23], v[10:11]
	v_fma_f64 v[10:11], v[14:15], s[22:23], -v[10:11]
	v_add_f64 v[14:15], v[90:91], v[136:137]
	v_add_f64 v[254:255], v[88:89], v[156:157]
	;; [unrolled: 1-line block ×4, first 2 shown]
	v_fma_f64 v[130:131], v[22:23], s[20:21], -v[216:217]
	scratch_store_b64 off, v[0:1], off offset:216 ; 8-byte Folded Spill
	v_add_f64 v[0:1], v[88:89], v[154:155]
	v_add_f64 v[154:155], v[88:89], v[158:159]
	v_dual_mov_b32 v159, v87 :: v_dual_mov_b32 v158, v86
	v_dual_mov_b32 v157, v85 :: v_dual_mov_b32 v156, v84
	;; [unrolled: 1-line block ×4, first 2 shown]
	v_mul_f64 v[202:203], v[118:119], s[26:27]
	v_add_f64 v[136:137], v[88:89], v[164:165]
	v_add_f64 v[164:165], v[90:91], v[4:5]
	;; [unrolled: 1-line block ×4, first 2 shown]
	scratch_store_b64 off, v[0:1], off offset:208 ; 8-byte Folded Spill
	v_add_f64 v[0:1], v[90:91], v[142:143]
	v_add_f64 v[142:143], v[90:91], v[150:151]
	;; [unrolled: 1-line block ×3, first 2 shown]
	v_mul_f64 v[174:175], v[126:127], s[30:31]
	scratch_store_b64 off, v[0:1], off offset:184 ; 8-byte Folded Spill
	v_add_f64 v[0:1], v[88:89], v[170:171]
	scratch_store_b64 off, v[0:1], off offset:176 ; 8-byte Folded Spill
	v_add_f64 v[0:1], v[90:91], v[144:145]
	v_add_f64 v[144:145], v[90:91], v[148:149]
	;; [unrolled: 1-line block ×3, first 2 shown]
	scratch_store_b64 off, v[0:1], off offset:152 ; 8-byte Folded Spill
	v_add_f64 v[0:1], v[88:89], v[172:173]
	v_dual_mov_b32 v173, v83 :: v_dual_mov_b32 v172, v82
	v_dual_mov_b32 v171, v81 :: v_dual_mov_b32 v170, v80
	;; [unrolled: 1-line block ×4, first 2 shown]
	v_mul_f64 v[204:205], v[120:121], s[26:27]
	v_mul_f64 v[206:207], v[120:121], s[44:45]
	scratch_store_b64 off, v[0:1], off offset:144 ; 8-byte Folded Spill
	v_add_f64 v[0:1], v[90:91], v[132:133]
	scratch_store_b64 off, v[0:1], off offset:136 ; 8-byte Folded Spill
	v_add_f64 v[0:1], v[88:89], v[160:161]
	v_mul_f64 v[160:161], v[60:61], s[42:43]
	scratch_store_b64 off, v[0:1], off offset:128 ; 8-byte Folded Spill
	v_add_f64 v[0:1], v[90:91], v[134:135]
	scratch_store_b64 off, v[0:1], off offset:104 ; 8-byte Folded Spill
	v_add_f64 v[0:1], v[88:89], v[162:163]
	;; [unrolled: 2-line block ×3, first 2 shown]
	v_mul_f64 v[8:9], v[126:127], s[40:41]
	v_fma_f64 v[90:91], v[18:19], s[10:11], -v[214:215]
	scratch_store_b64 off, v[0:1], off offset:88 ; 8-byte Folded Spill
	v_fma_f64 v[4:5], v[98:99], s[22:23], v[8:9]
	v_add_f64 v[0:1], v[88:89], v[10:11]
	v_mul_f64 v[10:11], v[102:103], s[40:41]
	v_fma_f64 v[8:9], v[98:99], s[22:23], -v[8:9]
	v_mul_f64 v[88:89], v[120:121], s[30:31]
	v_add_f64 v[4:5], v[4:5], v[14:15]
	v_mul_f64 v[14:15], v[124:125], s[38:39]
	v_fma_f64 v[6:7], v[96:97], s[22:23], -v[10:11]
	v_fma_f64 v[10:11], v[96:97], s[22:23], v[10:11]
	v_add_f64 v[8:9], v[8:9], v[164:165]
	scratch_store_b64 off, v[0:1], off offset:80 ; 8-byte Folded Spill
	v_fma_f64 v[132:133], v[104:105], s[2:3], v[14:15]
	v_add_f64 v[6:7], v[6:7], v[136:137]
	v_add_f64 v[10:11], v[10:11], v[12:13]
	v_fma_f64 v[12:13], v[104:105], s[2:3], -v[14:15]
	v_fma_f64 v[14:15], v[32:33], s[16:17], v[204:205]
	v_add_f64 v[4:5], v[132:133], v[4:5]
	v_mul_f64 v[132:133], v[100:101], s[38:39]
	s_delay_alu instid0(VALU_DEP_4) | instskip(NEXT) | instid1(VALU_DEP_2)
	v_add_f64 v[8:9], v[12:13], v[8:9]
	v_fma_f64 v[134:135], v[30:31], s[2:3], -v[132:133]
	v_fma_f64 v[12:13], v[30:31], s[2:3], v[132:133]
	v_mul_f64 v[132:133], v[126:127], s[44:45]
	s_delay_alu instid0(VALU_DEP_3) | instskip(SKIP_1) | instid1(VALU_DEP_4)
	v_add_f64 v[6:7], v[134:135], v[6:7]
	v_mul_f64 v[134:135], v[110:111], s[34:35]
	v_add_f64 v[10:11], v[12:13], v[10:11]
	s_delay_alu instid0(VALU_DEP_2) | instskip(SKIP_2) | instid1(VALU_DEP_3)
	v_fma_f64 v[136:137], v[18:19], s[20:21], v[134:135]
	v_fma_f64 v[12:13], v[18:19], s[20:21], -v[134:135]
	v_mul_f64 v[134:135], v[102:103], s[44:45]
	v_add_f64 v[4:5], v[136:137], v[4:5]
	v_mul_f64 v[136:137], v[106:107], s[34:35]
	s_delay_alu instid0(VALU_DEP_4) | instskip(NEXT) | instid1(VALU_DEP_2)
	v_add_f64 v[8:9], v[12:13], v[8:9]
	v_fma_f64 v[162:163], v[16:17], s[20:21], -v[136:137]
	v_fma_f64 v[12:13], v[16:17], s[20:21], v[136:137]
	v_mul_f64 v[136:137], v[124:125], s[42:43]
	s_delay_alu instid0(VALU_DEP_3) | instskip(SKIP_1) | instid1(VALU_DEP_4)
	v_add_f64 v[6:7], v[162:163], v[6:7]
	v_mul_f64 v[162:163], v[114:115], s[24:25]
	v_add_f64 v[10:11], v[12:13], v[10:11]
	s_delay_alu instid0(VALU_DEP_2) | instskip(SKIP_1) | instid1(VALU_DEP_2)
	v_fma_f64 v[176:177], v[22:23], s[8:9], v[162:163]
	v_fma_f64 v[12:13], v[22:23], s[8:9], -v[162:163]
	v_add_f64 v[4:5], v[176:177], v[4:5]
	v_mul_f64 v[176:177], v[108:109], s[24:25]
	s_delay_alu instid0(VALU_DEP_3) | instskip(NEXT) | instid1(VALU_DEP_2)
	v_add_f64 v[8:9], v[12:13], v[8:9]
	v_fma_f64 v[178:179], v[20:21], s[8:9], -v[176:177]
	v_fma_f64 v[12:13], v[20:21], s[8:9], v[176:177]
	s_delay_alu instid0(VALU_DEP_2) | instskip(SKIP_1) | instid1(VALU_DEP_3)
	v_add_f64 v[6:7], v[178:179], v[6:7]
	v_mul_f64 v[178:179], v[122:123], s[44:45]
	v_add_f64 v[10:11], v[12:13], v[10:11]
	s_delay_alu instid0(VALU_DEP_2) | instskip(SKIP_1) | instid1(VALU_DEP_2)
	v_fma_f64 v[192:193], v[28:29], s[18:19], v[178:179]
	v_fma_f64 v[12:13], v[28:29], s[18:19], -v[178:179]
	v_add_f64 v[4:5], v[192:193], v[4:5]
	v_mul_f64 v[192:193], v[112:113], s[44:45]
	s_delay_alu instid0(VALU_DEP_3) | instskip(NEXT) | instid1(VALU_DEP_2)
	v_add_f64 v[8:9], v[12:13], v[8:9]
	v_fma_f64 v[194:195], v[26:27], s[18:19], -v[192:193]
	v_fma_f64 v[12:13], v[26:27], s[18:19], v[192:193]
	s_delay_alu instid0(VALU_DEP_2) | instskip(SKIP_1) | instid1(VALU_DEP_3)
	;; [unrolled: 13-line block ×3, first 2 shown]
	v_add_f64 v[200:201], v[200:201], v[6:7]
	v_fma_f64 v[6:7], v[116:117], s[16:17], v[202:203]
	v_add_f64 v[12:13], v[12:13], v[10:11]
	v_fma_f64 v[10:11], v[116:117], s[16:17], -v[202:203]
	v_mul_f64 v[202:203], v[118:119], s[46:47]
	s_delay_alu instid0(VALU_DEP_4) | instskip(SKIP_3) | instid1(VALU_DEP_3)
	v_add_f64 v[2:3], v[6:7], v[4:5]
	v_fma_f64 v[4:5], v[32:33], s[16:17], -v[204:205]
	v_mul_f64 v[204:205], v[120:121], s[46:47]
	v_fma_f64 v[6:7], v[116:117], s[22:23], -v[208:209]
	v_add_f64 v[0:1], v[4:5], v[200:201]
	v_mul_f64 v[4:5], v[118:119], s[24:25]
	scratch_store_b128 off, v[0:3], off offset:48 ; 16-byte Folded Spill
	v_add_f64 v[0:1], v[14:15], v[12:13]
	v_fma_f64 v[12:13], v[98:99], s[18:19], v[132:133]
	v_fma_f64 v[14:15], v[96:97], s[18:19], -v[134:135]
	v_fma_f64 v[132:133], v[98:99], s[18:19], -v[132:133]
	v_fma_f64 v[134:135], v[96:97], s[18:19], v[134:135]
	v_add_f64 v[2:3], v[10:11], v[8:9]
	v_fma_f64 v[10:11], v[98:99], s[8:9], -v[210:211]
	v_add_f64 v[12:13], v[12:13], v[138:139]
	v_fma_f64 v[138:139], v[104:105], s[16:17], v[136:137]
	v_add_f64 v[14:15], v[14:15], v[166:167]
	v_add_f64 v[132:133], v[132:133], v[180:181]
	v_fma_f64 v[136:137], v[104:105], s[16:17], -v[136:137]
	v_add_f64 v[134:135], v[134:135], v[152:153]
	scratch_store_b128 off, v[0:3], off offset:64 ; 16-byte Folded Spill
	v_mul_f64 v[180:181], v[114:115], s[26:27]
	v_add_f64 v[10:11], v[10:11], v[94:95]
	v_mul_f64 v[94:95], v[102:103], s[24:25]
	v_add_f64 v[12:13], v[138:139], v[12:13]
	;; [unrolled: 2-line block ×3, first 2 shown]
	s_delay_alu instid0(VALU_DEP_2) | instskip(SKIP_2) | instid1(VALU_DEP_3)
	v_fma_f64 v[162:163], v[30:31], s[16:17], -v[138:139]
	v_fma_f64 v[136:137], v[30:31], s[16:17], v[138:139]
	v_fma_f64 v[138:139], v[32:33], s[10:11], v[204:205]
	v_add_f64 v[14:15], v[162:163], v[14:15]
	v_mul_f64 v[162:163], v[110:111], s[50:51]
	s_delay_alu instid0(VALU_DEP_4) | instskip(NEXT) | instid1(VALU_DEP_2)
	v_add_f64 v[134:135], v[136:137], v[134:135]
	v_fma_f64 v[164:165], v[18:19], s[8:9], v[162:163]
	v_fma_f64 v[136:137], v[18:19], s[8:9], -v[162:163]
	v_mul_f64 v[162:163], v[126:127], s[52:53]
	s_delay_alu instid0(VALU_DEP_3) | instskip(SKIP_1) | instid1(VALU_DEP_4)
	v_add_f64 v[12:13], v[164:165], v[12:13]
	v_mul_f64 v[164:165], v[106:107], s[50:51]
	v_add_f64 v[132:133], v[136:137], v[132:133]
	s_delay_alu instid0(VALU_DEP_2) | instskip(SKIP_2) | instid1(VALU_DEP_3)
	v_fma_f64 v[166:167], v[16:17], s[8:9], -v[164:165]
	v_fma_f64 v[136:137], v[16:17], s[8:9], v[164:165]
	v_mul_f64 v[164:165], v[102:103], s[52:53]
	v_add_f64 v[14:15], v[166:167], v[14:15]
	v_mul_f64 v[166:167], v[114:115], s[28:29]
	s_delay_alu instid0(VALU_DEP_4) | instskip(NEXT) | instid1(VALU_DEP_2)
	v_add_f64 v[134:135], v[136:137], v[134:135]
	v_fma_f64 v[176:177], v[22:23], s[22:23], v[166:167]
	v_fma_f64 v[136:137], v[22:23], s[22:23], -v[166:167]
	v_mul_f64 v[166:167], v[124:125], s[28:29]
	s_delay_alu instid0(VALU_DEP_3) | instskip(SKIP_1) | instid1(VALU_DEP_4)
	v_add_f64 v[12:13], v[176:177], v[12:13]
	v_mul_f64 v[176:177], v[108:109], s[28:29]
	v_add_f64 v[132:133], v[136:137], v[132:133]
	s_delay_alu instid0(VALU_DEP_2) | instskip(SKIP_2) | instid1(VALU_DEP_3)
	v_fma_f64 v[178:179], v[20:21], s[22:23], -v[176:177]
	v_fma_f64 v[136:137], v[20:21], s[22:23], v[176:177]
	v_mul_f64 v[176:177], v[110:111], s[38:39]
	;; [unrolled: 15-line block ×4, first 2 shown]
	v_add_f64 v[200:201], v[200:201], v[14:15]
	v_fma_f64 v[14:15], v[116:117], s[10:11], v[202:203]
	s_delay_alu instid0(VALU_DEP_4) | instskip(SKIP_2) | instid1(VALU_DEP_4)
	v_add_f64 v[136:137], v[136:137], v[134:135]
	v_fma_f64 v[134:135], v[116:117], s[10:11], -v[202:203]
	v_mul_f64 v[202:203], v[62:63], s[30:31]
	v_add_f64 v[2:3], v[14:15], v[12:13]
	v_fma_f64 v[12:13], v[32:33], s[10:11], -v[204:205]
	v_mul_f64 v[204:205], v[118:119], s[44:45]
	s_mov_b32 s45, 0x3fc7851a
	s_mov_b32 s44, s30
	s_delay_alu instid0(SALU_CYCLE_1) | instskip(NEXT) | instid1(VALU_DEP_3)
	v_mul_f64 v[212:213], v[124:125], s[44:45]
	v_add_f64 v[0:1], v[12:13], v[200:201]
	v_mul_f64 v[200:201], v[60:61], s[30:31]
	v_mul_f64 v[12:13], v[120:121], s[40:41]
	s_delay_alu instid0(VALU_DEP_4)
	v_fma_f64 v[14:15], v[104:105], s[0:1], -v[212:213]
	scratch_store_b128 off, v[0:3], off offset:112 ; 16-byte Folded Spill
	v_add_f64 v[0:1], v[138:139], v[136:137]
	v_fma_f64 v[136:137], v[98:99], s[10:11], v[162:163]
	v_fma_f64 v[138:139], v[96:97], s[10:11], -v[164:165]
	v_add_f64 v[2:3], v[134:135], v[132:133]
	v_mul_f64 v[134:135], v[112:113], s[24:25]
	v_mul_f64 v[132:133], v[62:63], s[38:39]
	v_add_f64 v[10:11], v[14:15], v[10:11]
	v_mul_f64 v[14:15], v[100:101], s[44:45]
	v_add_f64 v[136:137], v[136:137], v[140:141]
	v_add_f64 v[138:139], v[138:139], v[168:169]
	v_fma_f64 v[140:141], v[104:105], s[22:23], v[166:167]
	v_mul_f64 v[168:169], v[100:101], s[28:29]
	scratch_store_b128 off, v[0:3], off offset:160 ; 16-byte Folded Spill
	v_add_f64 v[10:11], v[90:91], v[10:11]
	v_mul_f64 v[90:91], v[106:107], s[52:53]
	v_add_f64 v[136:137], v[140:141], v[136:137]
	v_fma_f64 v[140:141], v[30:31], s[22:23], -v[168:169]
	s_delay_alu instid0(VALU_DEP_4) | instskip(SKIP_1) | instid1(VALU_DEP_3)
	v_add_f64 v[10:11], v[130:131], v[10:11]
	v_mul_f64 v[130:131], v[108:109], s[34:35]
	v_add_f64 v[138:139], v[140:141], v[138:139]
	v_fma_f64 v[140:141], v[18:19], s[2:3], v[176:177]
	s_delay_alu instid0(VALU_DEP_1) | instskip(SKIP_1) | instid1(VALU_DEP_1)
	v_add_f64 v[136:137], v[140:141], v[136:137]
	v_fma_f64 v[140:141], v[16:17], s[2:3], -v[178:179]
	v_add_f64 v[138:139], v[140:141], v[138:139]
	v_fma_f64 v[140:141], v[22:23], s[16:17], v[180:181]
	s_delay_alu instid0(VALU_DEP_1) | instskip(SKIP_1) | instid1(VALU_DEP_1)
	v_add_f64 v[136:137], v[140:141], v[136:137]
	v_fma_f64 v[140:141], v[20:21], s[16:17], -v[192:193]
	;; [unrolled: 5-line block ×4, first 2 shown]
	v_add_f64 v[140:141], v[140:141], v[138:139]
	v_fma_f64 v[138:139], v[116:117], s[18:19], v[204:205]
	s_delay_alu instid0(VALU_DEP_1) | instskip(SKIP_2) | instid1(VALU_DEP_2)
	v_add_f64 v[2:3], v[138:139], v[136:137]
	v_fma_f64 v[136:137], v[32:33], s[18:19], -v[206:207]
	v_mul_f64 v[138:139], v[108:109], s[46:47]
	v_add_f64 v[0:1], v[136:137], v[140:141]
	v_mul_f64 v[136:137], v[126:127], s[42:43]
	scratch_store_b128 off, v[0:3], off offset:192 ; 16-byte Folded Spill
	v_mul_f64 v[0:1], v[126:127], s[48:49]
	scratch_store_b64 off, v[0:1], off offset:224 ; 8-byte Folded Spill
	v_fma_f64 v[140:141], v[98:99], s[20:21], -v[0:1]
	v_mul_f64 v[0:1], v[102:103], s[48:49]
	s_delay_alu instid0(VALU_DEP_2) | instskip(SKIP_4) | instid1(VALU_DEP_3)
	v_add_f64 v[140:141], v[140:141], v[142:143]
	scratch_store_b64 off, v[0:1], off offset:232 ; 8-byte Folded Spill
	v_fma_f64 v[142:143], v[96:97], s[20:21], v[0:1]
	v_mul_f64 v[0:1], v[124:125], s[36:37]
	v_mul_f64 v[124:125], v[124:125], s[34:35]
	v_add_f64 v[142:143], v[142:143], v[146:147]
	scratch_store_b64 off, v[0:1], off offset:240 ; 8-byte Folded Spill
	v_fma_f64 v[146:147], v[104:105], s[18:19], -v[0:1]
	v_mul_f64 v[0:1], v[100:101], s[36:37]
	s_delay_alu instid0(VALU_DEP_2) | instskip(SKIP_4) | instid1(VALU_DEP_3)
	v_add_f64 v[140:141], v[146:147], v[140:141]
	scratch_store_b64 off, v[0:1], off offset:248 ; 8-byte Folded Spill
	v_fma_f64 v[146:147], v[30:31], s[18:19], v[0:1]
	v_mul_f64 v[0:1], v[110:111], s[42:43]
	v_mul_f64 v[110:111], v[110:111], s[36:37]
	v_add_f64 v[142:143], v[146:147], v[142:143]
	scratch_store_b64 off, v[0:1], off offset:256 ; 8-byte Folded Spill
	v_fma_f64 v[146:147], v[18:19], s[16:17], -v[0:1]
	v_mul_f64 v[0:1], v[106:107], s[42:43]
	v_mul_f64 v[106:107], v[106:107], s[36:37]
	s_delay_alu instid0(VALU_DEP_3)
	v_add_f64 v[140:141], v[146:147], v[140:141]
	scratch_store_b64 off, v[0:1], off offset:264 ; 8-byte Folded Spill
	v_fma_f64 v[146:147], v[16:17], s[16:17], v[0:1]
	v_mul_f64 v[0:1], v[114:115], s[46:47]
	s_mov_b32 s47, 0x3fe0d888
	s_mov_b32 s46, s38
	s_delay_alu instid0(SALU_CYCLE_1)
	v_mul_f64 v[248:249], v[114:115], s[46:47]
	v_mul_f64 v[250:251], v[108:109], s[46:47]
	;; [unrolled: 1-line block ×4, first 2 shown]
	v_add_f64 v[142:143], v[146:147], v[142:143]
	v_fma_f64 v[146:147], v[22:23], s[10:11], -v[0:1]
	scratch_store_b64 off, v[0:1], off offset:272 ; 8-byte Folded Spill
	v_mul_f64 v[0:1], v[122:123], s[24:25]
	v_mul_f64 v[122:123], v[122:123], s[26:27]
	v_add_f64 v[140:141], v[146:147], v[140:141]
	v_fma_f64 v[146:147], v[20:21], s[10:11], v[138:139]
	scratch_store_b64 off, v[0:1], off offset:280 ; 8-byte Folded Spill
	v_add_f64 v[142:143], v[146:147], v[142:143]
	v_fma_f64 v[146:147], v[28:29], s[8:9], -v[0:1]
	v_dual_mov_b32 v0, v76 :: v_dual_mov_b32 v1, v77
	v_dual_mov_b32 v2, v78 :: v_dual_mov_b32 v3, v79
	v_dual_mov_b32 v79, v59 :: v_dual_mov_b32 v78, v58
	v_dual_mov_b32 v77, v57 :: v_dual_mov_b32 v76, v56
	v_mul_f64 v[56:57], v[60:61], s[28:29]
	v_add_f64 v[140:141], v[146:147], v[140:141]
	v_fma_f64 v[146:147], v[26:27], s[8:9], v[134:135]
	s_delay_alu instid0(VALU_DEP_3) | instskip(NEXT) | instid1(VALU_DEP_2)
	v_fma_f64 v[58:59], v[34:35], s[22:23], -v[56:57]
	v_add_f64 v[142:143], v[146:147], v[142:143]
	v_fma_f64 v[146:147], v[34:35], s[2:3], -v[182:183]
	s_delay_alu instid0(VALU_DEP_1) | instskip(SKIP_1) | instid1(VALU_DEP_1)
	v_add_f64 v[140:141], v[146:147], v[140:141]
	v_fma_f64 v[146:147], v[24:25], s[2:3], v[132:133]
	v_add_f64 v[146:147], v[146:147], v[142:143]
	v_fma_f64 v[142:143], v[116:117], s[0:1], -v[128:129]
	s_delay_alu instid0(VALU_DEP_1) | instskip(SKIP_1) | instid1(VALU_DEP_1)
	v_add_f64 v[142:143], v[142:143], v[140:141]
	v_fma_f64 v[140:141], v[32:33], s[0:1], v[88:89]
	;; [unrolled: 5-line block ×8, first 2 shown]
	v_add_f64 v[148:149], v[148:149], v[146:147]
	s_delay_alu instid0(VALU_DEP_3)
	v_add_f64 v[146:147], v[6:7], v[144:145]
	v_fma_f64 v[144:145], v[32:33], s[22:23], v[12:13]
	v_dual_mov_b32 v6, v68 :: v_dual_mov_b32 v7, v69
	v_dual_mov_b32 v8, v70 :: v_dual_mov_b32 v9, v71
	;; [unrolled: 1-line block ×4, first 2 shown]
	v_mul_f64 v[48:49], v[118:119], s[34:35]
	v_mul_f64 v[118:119], v[120:121], s[24:25]
	v_add_f64 v[144:145], v[144:145], v[148:149]
	v_fma_f64 v[148:149], v[96:97], s[8:9], v[94:95]
	s_delay_alu instid0(VALU_DEP_4) | instskip(NEXT) | instid1(VALU_DEP_2)
	v_fma_f64 v[50:51], v[116:117], s[20:21], -v[48:49]
	v_add_f64 v[148:149], v[148:149], v[150:151]
	v_fma_f64 v[150:151], v[30:31], s[0:1], v[14:15]
	v_fma_f64 v[14:15], v[30:31], s[0:1], -v[14:15]
	s_delay_alu instid0(VALU_DEP_2) | instskip(SKIP_1) | instid1(VALU_DEP_1)
	v_add_f64 v[148:149], v[150:151], v[148:149]
	v_fma_f64 v[150:151], v[16:17], s[10:11], v[90:91]
	v_add_f64 v[148:149], v[150:151], v[148:149]
	v_fma_f64 v[150:151], v[20:21], s[20:21], v[130:131]
	s_delay_alu instid0(VALU_DEP_1) | instskip(SKIP_1) | instid1(VALU_DEP_1)
	v_add_f64 v[148:149], v[150:151], v[148:149]
	v_fma_f64 v[150:151], v[28:29], s[22:23], -v[218:219]
	v_add_f64 v[10:11], v[150:151], v[10:11]
	v_fma_f64 v[150:151], v[26:27], s[22:23], v[220:221]
	s_delay_alu instid0(VALU_DEP_1) | instskip(SKIP_1) | instid1(VALU_DEP_1)
	v_add_f64 v[148:149], v[150:151], v[148:149]
	v_fma_f64 v[150:151], v[34:35], s[16:17], -v[160:161]
	;; [unrolled: 5-line block ×3, first 2 shown]
	v_add_f64 v[150:151], v[150:151], v[10:11]
	v_mul_f64 v[10:11], v[120:121], s[38:39]
	s_delay_alu instid0(VALU_DEP_1) | instskip(SKIP_1) | instid1(VALU_DEP_2)
	v_fma_f64 v[152:153], v[32:33], s[2:3], v[10:11]
	v_fma_f64 v[10:11], v[32:33], s[2:3], -v[10:11]
	v_add_f64 v[148:149], v[152:153], v[148:149]
	v_fma_f64 v[152:153], v[98:99], s[0:1], -v[174:175]
	s_delay_alu instid0(VALU_DEP_1) | instskip(SKIP_1) | instid1(VALU_DEP_1)
	v_add_f64 v[92:93], v[152:153], v[92:93]
	v_fma_f64 v[152:153], v[96:97], s[0:1], v[226:227]
	v_add_f64 v[152:153], v[152:153], v[154:155]
	v_fma_f64 v[154:155], v[104:105], s[10:11], -v[228:229]
	s_delay_alu instid0(VALU_DEP_1) | instskip(SKIP_1) | instid1(VALU_DEP_1)
	v_add_f64 v[92:93], v[154:155], v[92:93]
	v_fma_f64 v[154:155], v[30:31], s[10:11], v[190:191]
	;; [unrolled: 5-line block ×3, first 2 shown]
	v_add_f64 v[152:153], v[154:155], v[152:153]
	v_fma_f64 v[154:155], v[22:23], s[18:19], -v[232:233]
	s_delay_alu instid0(VALU_DEP_1) | instskip(SKIP_1) | instid1(VALU_DEP_2)
	v_add_f64 v[92:93], v[154:155], v[92:93]
	v_fma_f64 v[154:155], v[20:21], s[18:19], v[234:235]
	v_add_f64 v[42:43], v[42:43], v[92:93]
	v_mul_f64 v[92:93], v[112:113], s[38:39]
	s_delay_alu instid0(VALU_DEP_3) | instskip(SKIP_1) | instid1(VALU_DEP_4)
	v_add_f64 v[152:153], v[154:155], v[152:153]
	v_mul_f64 v[112:113], v[112:113], s[26:27]
	v_add_f64 v[42:43], v[46:47], v[42:43]
	s_delay_alu instid0(VALU_DEP_4) | instskip(SKIP_1) | instid1(VALU_DEP_2)
	v_fma_f64 v[154:155], v[26:27], s[2:3], v[92:93]
	v_mul_f64 v[46:47], v[62:63], s[50:51]
	v_add_f64 v[152:153], v[154:155], v[152:153]
	s_delay_alu instid0(VALU_DEP_2) | instskip(NEXT) | instid1(VALU_DEP_1)
	v_fma_f64 v[154:155], v[24:25], s[8:9], v[46:47]
	v_add_f64 v[152:153], v[154:155], v[152:153]
	v_add_f64 v[154:155], v[50:51], v[42:43]
	v_mul_f64 v[42:43], v[120:121], s[34:35]
	v_fma_f64 v[120:121], v[32:33], s[18:19], v[206:207]
	s_delay_alu instid0(VALU_DEP_2) | instskip(SKIP_1) | instid1(VALU_DEP_2)
	v_fma_f64 v[50:51], v[32:33], s[20:21], v[42:43]
	v_fma_f64 v[42:43], v[32:33], s[20:21], -v[42:43]
	v_add_f64 v[152:153], v[50:51], v[152:153]
	v_mul_f64 v[50:51], v[126:127], s[46:47]
	s_delay_alu instid0(VALU_DEP_1) | instskip(SKIP_1) | instid1(VALU_DEP_2)
	v_fma_f64 v[126:127], v[98:99], s[2:3], -v[50:51]
	v_fma_f64 v[50:51], v[98:99], s[2:3], v[50:51]
	v_add_f64 v[126:127], v[126:127], v[184:185]
	v_dual_mov_b32 v187, v75 :: v_dual_mov_b32 v186, v74
	v_dual_mov_b32 v185, v73 :: v_dual_mov_b32 v184, v72
	;; [unrolled: 1-line block ×4, first 2 shown]
	v_mul_f64 v[52:53], v[102:103], s[46:47]
	v_fma_f64 v[102:103], v[104:105], s[20:21], -v[124:125]
	s_delay_alu instid0(VALU_DEP_2) | instskip(NEXT) | instid1(VALU_DEP_2)
	v_fma_f64 v[54:55], v[96:97], s[2:3], v[52:53]
	v_add_f64 v[102:103], v[102:103], v[126:127]
	v_mul_f64 v[126:127], v[100:101], s[34:35]
	v_fma_f64 v[52:53], v[96:97], s[2:3], -v[52:53]
	s_delay_alu instid0(VALU_DEP_4) | instskip(SKIP_1) | instid1(VALU_DEP_4)
	v_add_f64 v[54:55], v[54:55], v[254:255]
	v_mul_f64 v[254:255], v[62:63], s[28:29]
	v_fma_f64 v[100:101], v[30:31], s[20:21], v[126:127]
	s_delay_alu instid0(VALU_DEP_2) | instskip(NEXT) | instid1(VALU_DEP_2)
	v_fma_f64 v[60:61], v[24:25], s[22:23], v[254:255]
	v_add_f64 v[54:55], v[100:101], v[54:55]
	v_fma_f64 v[100:101], v[18:19], s[18:19], -v[110:111]
	s_delay_alu instid0(VALU_DEP_1) | instskip(SKIP_1) | instid1(VALU_DEP_1)
	v_add_f64 v[100:101], v[100:101], v[102:103]
	v_fma_f64 v[102:103], v[16:17], s[18:19], v[106:107]
	v_add_f64 v[54:55], v[102:103], v[54:55]
	v_fma_f64 v[102:103], v[22:23], s[0:1], -v[114:115]
	s_delay_alu instid0(VALU_DEP_1) | instskip(SKIP_1) | instid1(VALU_DEP_1)
	v_add_f64 v[100:101], v[102:103], v[100:101]
	v_fma_f64 v[102:103], v[20:21], s[0:1], v[108:109]
	v_add_f64 v[54:55], v[102:103], v[54:55]
	v_fma_f64 v[102:103], v[28:29], s[16:17], -v[122:123]
	s_delay_alu instid0(VALU_DEP_1) | instskip(SKIP_1) | instid1(VALU_DEP_2)
	v_add_f64 v[100:101], v[102:103], v[100:101]
	v_fma_f64 v[102:103], v[26:27], s[16:17], v[112:113]
	v_add_f64 v[58:59], v[58:59], v[100:101]
	s_delay_alu instid0(VALU_DEP_2) | instskip(SKIP_3) | instid1(VALU_DEP_1)
	v_add_f64 v[54:55], v[102:103], v[54:55]
	scratch_load_b64 v[100:101], off, off offset:208 ; 8-byte Folded Reload
	v_add_f64 v[54:55], v[60:61], v[54:55]
	v_fma_f64 v[60:61], v[116:117], s[8:9], -v[4:5]
	v_add_f64 v[62:63], v[60:61], v[58:59]
	v_fma_f64 v[58:59], v[32:33], s[8:9], v[118:119]
	s_delay_alu instid0(VALU_DEP_1) | instskip(SKIP_3) | instid1(VALU_DEP_1)
	v_add_f64 v[60:61], v[58:59], v[54:55]
	scratch_load_b64 v[58:59], off, off offset:216 ; 8-byte Folded Reload
	v_fma_f64 v[54:55], v[98:99], s[10:11], -v[162:163]
	s_waitcnt vmcnt(0)
	v_add_f64 v[54:55], v[54:55], v[58:59]
	v_fma_f64 v[58:59], v[96:97], s[10:11], v[164:165]
	s_delay_alu instid0(VALU_DEP_1) | instskip(SKIP_1) | instid1(VALU_DEP_1)
	v_add_f64 v[58:59], v[58:59], v[100:101]
	v_fma_f64 v[100:101], v[104:105], s[22:23], -v[166:167]
	v_add_f64 v[54:55], v[100:101], v[54:55]
	v_fma_f64 v[100:101], v[30:31], s[22:23], v[168:169]
	s_delay_alu instid0(VALU_DEP_1) | instskip(SKIP_1) | instid1(VALU_DEP_1)
	v_add_f64 v[58:59], v[100:101], v[58:59]
	v_fma_f64 v[100:101], v[18:19], s[2:3], -v[176:177]
	;; [unrolled: 5-line block ×4, first 2 shown]
	v_add_f64 v[54:55], v[100:101], v[54:55]
	v_fma_f64 v[100:101], v[26:27], s[20:21], v[196:197]
	scratch_load_b128 v[194:197], off, off offset:16 ; 16-byte Folded Reload
	v_add_f64 v[58:59], v[100:101], v[58:59]
	v_fma_f64 v[100:101], v[34:35], s[0:1], -v[200:201]
	s_delay_alu instid0(VALU_DEP_1)
	v_add_f64 v[54:55], v[100:101], v[54:55]
	v_fma_f64 v[100:101], v[24:25], s[0:1], v[202:203]
	v_dual_mov_b32 v203, v87 :: v_dual_mov_b32 v202, v86
	v_dual_mov_b32 v201, v85 :: v_dual_mov_b32 v200, v84
	;; [unrolled: 1-line block ×4, first 2 shown]
	v_add_f64 v[58:59], v[100:101], v[58:59]
	v_fma_f64 v[100:101], v[116:117], s[18:19], -v[204:205]
	v_dual_mov_b32 v207, v83 :: v_dual_mov_b32 v206, v82
	v_dual_mov_b32 v205, v81 :: v_dual_mov_b32 v204, v80
	v_dual_mov_b32 v80, v170 :: v_dual_mov_b32 v81, v171
	v_dual_mov_b32 v82, v172 :: v_dual_mov_b32 v83, v173
	v_add_f64 v[102:103], v[100:101], v[54:55]
	scratch_load_b64 v[54:55], off, off offset:184 ; 8-byte Folded Reload
	v_add_f64 v[100:101], v[120:121], v[58:59]
	s_waitcnt vmcnt(0)
	v_add_f64 v[50:51], v[50:51], v[54:55]
	scratch_load_b64 v[54:55], off, off offset:176 ; 8-byte Folded Reload
	s_waitcnt vmcnt(0)
	v_add_f64 v[52:53], v[52:53], v[54:55]
	v_fma_f64 v[54:55], v[104:105], s[20:21], v[124:125]
	s_delay_alu instid0(VALU_DEP_1) | instskip(SKIP_1) | instid1(VALU_DEP_1)
	v_add_f64 v[50:51], v[54:55], v[50:51]
	v_fma_f64 v[54:55], v[30:31], s[20:21], -v[126:127]
	v_add_f64 v[52:53], v[54:55], v[52:53]
	v_fma_f64 v[54:55], v[18:19], s[18:19], v[110:111]
	s_delay_alu instid0(VALU_DEP_1) | instskip(SKIP_1) | instid1(VALU_DEP_1)
	v_add_f64 v[50:51], v[54:55], v[50:51]
	v_fma_f64 v[54:55], v[16:17], s[18:19], -v[106:107]
	;; [unrolled: 5-line block ×4, first 2 shown]
	v_add_f64 v[52:53], v[54:55], v[52:53]
	v_fma_f64 v[54:55], v[34:35], s[22:23], v[56:57]
	v_fma_f64 v[56:57], v[32:33], s[8:9], -v[118:119]
	s_delay_alu instid0(VALU_DEP_2) | instskip(SKIP_1) | instid1(VALU_DEP_1)
	v_add_f64 v[50:51], v[54:55], v[50:51]
	v_fma_f64 v[54:55], v[24:25], s[22:23], -v[254:255]
	v_add_f64 v[52:53], v[54:55], v[52:53]
	v_fma_f64 v[54:55], v[116:117], s[8:9], v[4:5]
	v_fma_f64 v[4:5], v[116:117], s[0:1], v[128:129]
	s_delay_alu instid0(VALU_DEP_3)
	v_add_f64 v[106:107], v[56:57], v[52:53]
	v_dual_mov_b32 v56, v76 :: v_dual_mov_b32 v57, v77
	v_dual_mov_b32 v58, v78 :: v_dual_mov_b32 v59, v79
	;; [unrolled: 1-line block ×4, first 2 shown]
	scratch_load_b64 v[0:1], off, off offset:152 ; 8-byte Folded Reload
	v_add_f64 v[108:109], v[54:55], v[50:51]
	v_fma_f64 v[50:51], v[98:99], s[0:1], v[174:175]
	v_fma_f64 v[52:53], v[104:105], s[10:11], v[228:229]
	scratch_load_b64 v[2:3], off, off offset:232 ; 8-byte Folded Reload
	s_waitcnt vmcnt(1)
	v_add_f64 v[50:51], v[50:51], v[0:1]
	scratch_load_b64 v[0:1], off, off offset:144 ; 8-byte Folded Reload
	v_add_f64 v[50:51], v[52:53], v[50:51]
	v_fma_f64 v[52:53], v[18:19], s[22:23], v[230:231]
	s_delay_alu instid0(VALU_DEP_1) | instskip(SKIP_1) | instid1(VALU_DEP_1)
	v_add_f64 v[50:51], v[52:53], v[50:51]
	v_fma_f64 v[52:53], v[22:23], s[18:19], v[232:233]
	v_add_f64 v[50:51], v[52:53], v[50:51]
	v_fma_f64 v[52:53], v[30:31], s[10:11], -v[190:191]
	s_delay_alu instid0(VALU_DEP_2) | instskip(SKIP_1) | instid1(VALU_DEP_2)
	v_add_f64 v[40:41], v[40:41], v[50:51]
	v_fma_f64 v[50:51], v[96:97], s[0:1], -v[226:227]
	v_add_f64 v[40:41], v[44:45], v[40:41]
	v_fma_f64 v[44:45], v[24:25], s[8:9], -v[46:47]
	v_fma_f64 v[46:47], v[116:117], s[20:21], v[48:49]
	s_delay_alu instid0(VALU_DEP_1)
	v_add_f64 v[112:113], v[46:47], v[40:41]
	v_fma_f64 v[40:41], v[98:99], s[8:9], v[210:211]
	s_waitcnt vmcnt(0)
	v_add_f64 v[50:51], v[50:51], v[0:1]
	scratch_load_b64 v[0:1], off, off offset:136 ; 8-byte Folded Reload
	v_add_f64 v[50:51], v[52:53], v[50:51]
	v_fma_f64 v[52:53], v[16:17], s[22:23], -v[188:189]
	s_delay_alu instid0(VALU_DEP_1) | instskip(SKIP_1) | instid1(VALU_DEP_1)
	v_add_f64 v[50:51], v[52:53], v[50:51]
	v_fma_f64 v[52:53], v[20:21], s[18:19], -v[234:235]
	v_add_f64 v[50:51], v[52:53], v[50:51]
	v_fma_f64 v[52:53], v[26:27], s[2:3], -v[92:93]
	s_delay_alu instid0(VALU_DEP_1)
	v_add_f64 v[50:51], v[52:53], v[50:51]
	v_dual_mov_b32 v52, v72 :: v_dual_mov_b32 v53, v73
	v_dual_mov_b32 v54, v74 :: v_dual_mov_b32 v55, v75
	;; [unrolled: 1-line block ×4, first 2 shown]
	v_add_f64 v[44:45], v[44:45], v[50:51]
	v_dual_mov_b32 v48, v68 :: v_dual_mov_b32 v49, v69
	v_dual_mov_b32 v50, v70 :: v_dual_mov_b32 v51, v71
	;; [unrolled: 1-line block ×4, first 2 shown]
	v_fma_f64 v[6:7], v[32:33], s[22:23], -v[12:13]
	v_fma_f64 v[12:13], v[34:35], s[2:3], v[182:183]
	v_fma_f64 v[8:9], v[24:25], s[2:3], -v[132:133]
	v_add_f64 v[110:111], v[42:43], v[44:45]
	v_fma_f64 v[42:43], v[96:97], s[8:9], -v[94:95]
	v_fma_f64 v[44:45], v[104:105], s[0:1], v[212:213]
	s_waitcnt vmcnt(0)
	v_add_f64 v[40:41], v[40:41], v[0:1]
	scratch_load_b64 v[0:1], off, off offset:128 ; 8-byte Folded Reload
	v_add_f64 v[40:41], v[44:45], v[40:41]
	s_waitcnt vmcnt(0)
	v_add_f64 v[42:43], v[42:43], v[0:1]
	scratch_load_b64 v[0:1], off, off offset:104 ; 8-byte Folded Reload
	v_add_f64 v[14:15], v[14:15], v[42:43]
	v_fma_f64 v[42:43], v[18:19], s[10:11], v[214:215]
	s_delay_alu instid0(VALU_DEP_1) | instskip(SKIP_1) | instid1(VALU_DEP_1)
	v_add_f64 v[40:41], v[42:43], v[40:41]
	v_fma_f64 v[42:43], v[16:17], s[10:11], -v[90:91]
	v_add_f64 v[14:15], v[42:43], v[14:15]
	v_fma_f64 v[42:43], v[22:23], s[20:21], v[216:217]
	scratch_load_b32 v217, off, off offset:8 ; 4-byte Folded Reload
	v_add_f64 v[40:41], v[42:43], v[40:41]
	v_fma_f64 v[42:43], v[20:21], s[20:21], -v[130:131]
	s_delay_alu instid0(VALU_DEP_1) | instskip(SKIP_1) | instid1(VALU_DEP_1)
	v_add_f64 v[14:15], v[42:43], v[14:15]
	v_fma_f64 v[42:43], v[28:29], s[22:23], v[218:219]
	v_add_f64 v[40:41], v[42:43], v[40:41]
	v_fma_f64 v[42:43], v[26:27], s[22:23], -v[220:221]
	s_delay_alu instid0(VALU_DEP_1) | instskip(SKIP_1) | instid1(VALU_DEP_1)
	v_add_f64 v[14:15], v[42:43], v[14:15]
	v_fma_f64 v[42:43], v[34:35], s[16:17], v[160:161]
	v_add_f64 v[40:41], v[42:43], v[40:41]
	v_fma_f64 v[42:43], v[24:25], s[16:17], -v[222:223]
	s_delay_alu instid0(VALU_DEP_1) | instskip(SKIP_1) | instid1(VALU_DEP_2)
	v_add_f64 v[14:15], v[42:43], v[14:15]
	v_fma_f64 v[42:43], v[116:117], s[2:3], v[224:225]
	v_add_f64 v[118:119], v[10:11], v[14:15]
	v_fma_f64 v[10:11], v[98:99], s[16:17], v[136:137]
	s_delay_alu instid0(VALU_DEP_3) | instskip(SKIP_3) | instid1(VALU_DEP_4)
	v_add_f64 v[120:121], v[42:43], v[40:41]
	v_fma_f64 v[14:15], v[96:97], s[16:17], -v[238:239]
	v_fma_f64 v[40:41], v[104:105], s[8:9], v[240:241]
	s_waitcnt vmcnt(1)
	v_add_f64 v[10:11], v[10:11], v[0:1]
	scratch_load_b64 v[0:1], off, off offset:96 ; 8-byte Folded Reload
	v_add_f64 v[10:11], v[40:41], v[10:11]
	v_fma_f64 v[40:41], v[30:31], s[8:9], -v[242:243]
	s_waitcnt vmcnt(0)
	v_add_f64 v[14:15], v[14:15], v[0:1]
	v_fma_f64 v[0:1], v[34:35], s[18:19], v[38:39]
	s_delay_alu instid0(VALU_DEP_2) | instskip(SKIP_1) | instid1(VALU_DEP_1)
	v_add_f64 v[14:15], v[40:41], v[14:15]
	v_fma_f64 v[40:41], v[18:19], s[0:1], v[244:245]
	v_add_f64 v[10:11], v[40:41], v[10:11]
	v_fma_f64 v[40:41], v[16:17], s[0:1], -v[246:247]
	s_delay_alu instid0(VALU_DEP_1) | instskip(SKIP_1) | instid1(VALU_DEP_1)
	v_add_f64 v[14:15], v[40:41], v[14:15]
	v_fma_f64 v[40:41], v[22:23], s[2:3], v[248:249]
	v_add_f64 v[10:11], v[40:41], v[10:11]
	v_fma_f64 v[40:41], v[20:21], s[2:3], -v[250:251]
	s_delay_alu instid0(VALU_DEP_1) | instskip(SKIP_1) | instid1(VALU_DEP_1)
	v_add_f64 v[14:15], v[40:41], v[14:15]
	v_fma_f64 v[40:41], v[28:29], s[10:11], v[252:253]
	v_add_f64 v[10:11], v[40:41], v[10:11]
	v_fma_f64 v[40:41], v[26:27], s[10:11], -v[198:199]
	s_delay_alu instid0(VALU_DEP_2) | instskip(NEXT) | instid1(VALU_DEP_2)
	v_add_f64 v[0:1], v[0:1], v[10:11]
	v_add_f64 v[14:15], v[40:41], v[14:15]
	v_fma_f64 v[10:11], v[24:25], s[18:19], -v[36:37]
	s_delay_alu instid0(VALU_DEP_1) | instskip(SKIP_1) | instid1(VALU_DEP_2)
	v_add_f64 v[10:11], v[10:11], v[14:15]
	v_fma_f64 v[14:15], v[116:117], s[22:23], v[208:209]
	v_add_f64 v[92:93], v[6:7], v[10:11]
	s_delay_alu instid0(VALU_DEP_2)
	v_add_f64 v[94:95], v[14:15], v[0:1]
	scratch_load_b64 v[0:1], off, off offset:224 ; 8-byte Folded Reload
	v_fma_f64 v[6:7], v[96:97], s[20:21], -v[2:3]
	scratch_load_b64 v[2:3], off, off offset:240 ; 8-byte Folded Reload
	s_waitcnt vmcnt(0)
	v_fma_f64 v[10:11], v[104:105], s[18:19], v[2:3]
	scratch_load_b64 v[2:3], off, off offset:88 ; 8-byte Folded Reload
	v_fma_f64 v[0:1], v[98:99], s[20:21], v[0:1]
	s_waitcnt vmcnt(0)
	s_delay_alu instid0(VALU_DEP_1)
	v_add_f64 v[0:1], v[0:1], v[2:3]
	scratch_load_b64 v[2:3], off, off offset:248 ; 8-byte Folded Reload
	v_add_f64 v[0:1], v[10:11], v[0:1]
	s_waitcnt vmcnt(0)
	v_fma_f64 v[14:15], v[30:31], s[18:19], -v[2:3]
	scratch_load_b64 v[2:3], off, off offset:80 ; 8-byte Folded Reload
	s_waitcnt vmcnt(0)
	v_add_f64 v[6:7], v[6:7], v[2:3]
	scratch_load_b64 v[2:3], off, off offset:256 ; 8-byte Folded Reload
	v_add_f64 v[6:7], v[14:15], v[6:7]
	s_waitcnt vmcnt(0)
	v_fma_f64 v[18:19], v[18:19], s[16:17], v[2:3]
	scratch_load_b64 v[2:3], off, off offset:264 ; 8-byte Folded Reload
	v_add_f64 v[0:1], v[18:19], v[0:1]
	s_waitcnt vmcnt(0)
	v_fma_f64 v[10:11], v[16:17], s[16:17], -v[2:3]
	scratch_load_b64 v[2:3], off, off offset:272 ; 8-byte Folded Reload
	v_fma_f64 v[16:17], v[20:21], s[10:11], -v[138:139]
	v_add_f64 v[6:7], v[10:11], v[6:7]
	s_delay_alu instid0(VALU_DEP_1)
	v_add_f64 v[6:7], v[16:17], v[6:7]
	s_waitcnt vmcnt(0)
	v_fma_f64 v[14:15], v[22:23], s[10:11], v[2:3]
	scratch_load_b64 v[2:3], off, off offset:280 ; 8-byte Folded Reload
	v_add_f64 v[0:1], v[14:15], v[0:1]
	v_fma_f64 v[14:15], v[26:27], s[8:9], -v[134:135]
	s_delay_alu instid0(VALU_DEP_1) | instskip(NEXT) | instid1(VALU_DEP_1)
	v_add_f64 v[6:7], v[14:15], v[6:7]
	v_add_f64 v[6:7], v[8:9], v[6:7]
	s_waitcnt vmcnt(0)
	v_fma_f64 v[10:11], v[28:29], s[8:9], v[2:3]
	v_fma_f64 v[2:3], v[32:33], s[0:1], -v[88:89]
	s_delay_alu instid0(VALU_DEP_2) | instskip(NEXT) | instid1(VALU_DEP_2)
	v_add_f64 v[0:1], v[10:11], v[0:1]
	v_add_f64 v[16:17], v[2:3], v[6:7]
	s_delay_alu instid0(VALU_DEP_2) | instskip(NEXT) | instid1(VALU_DEP_1)
	v_add_f64 v[0:1], v[12:13], v[0:1]
	v_add_f64 v[18:19], v[4:5], v[0:1]
	s_clause 0x1
	scratch_load_b32 v0, off, off offset:288
	scratch_load_b128 v[1:4], off, off offset:32
	s_waitcnt vmcnt(1)
	v_and_b32_e32 v0, 0xffff, v0
	s_delay_alu instid0(VALU_DEP_1)
	v_lshlrev_b32_e32 v0, 4, v0
	s_waitcnt vmcnt(0)
	ds_store_b128 v0, v[1:4]
	ds_store_b128 v0, v[140:143] offset:16
	ds_store_b128 v0, v[144:147] offset:32
	;; [unrolled: 1-line block ×6, first 2 shown]
	scratch_load_b128 v[1:4], off, off offset:160 ; 16-byte Folded Reload
	s_waitcnt vmcnt(0)
	ds_store_b128 v0, v[1:4] offset:112
	scratch_load_b128 v[1:4], off, off offset:64 ; 16-byte Folded Reload
	s_waitcnt vmcnt(0)
	ds_store_b128 v0, v[1:4] offset:128
	;; [unrolled: 3-line block ×5, first 2 shown]
	ds_store_b128 v0, v[106:109] offset:192
	ds_store_b128 v0, v[110:113] offset:208
	;; [unrolled: 1-line block ×5, first 2 shown]
.LBB0_13:
	s_or_b32 exec_lo, exec_lo, s33
	s_waitcnt lgkmcnt(0)
	s_waitcnt_vscnt null, 0x0
	s_barrier
	buffer_gl0_inv
	ds_load_b128 v[0:3], v236 offset:1904
	ds_load_b128 v[4:7], v236 offset:3808
	;; [unrolled: 1-line block ×6, first 2 shown]
	s_mov_b32 s2, 0x37e14327
	s_mov_b32 s8, 0xe976ee23
	;; [unrolled: 1-line block ×14, first 2 shown]
	s_waitcnt lgkmcnt(5)
	v_mul_f64 v[24:25], v[54:55], v[2:3]
	v_mul_f64 v[26:27], v[54:55], v[0:1]
	s_waitcnt lgkmcnt(4)
	v_mul_f64 v[28:29], v[50:51], v[6:7]
	v_mul_f64 v[30:31], v[50:51], v[4:5]
	;; [unrolled: 3-line block ×6, first 2 shown]
	s_mov_b32 s21, 0xbfe77f67
	s_mov_b32 s25, 0x3fd5d0dc
	;; [unrolled: 1-line block ×6, first 2 shown]
	v_fma_f64 v[0:1], v[52:53], v[0:1], v[24:25]
	v_fma_f64 v[2:3], v[52:53], v[2:3], -v[26:27]
	v_fma_f64 v[4:5], v[48:49], v[4:5], v[28:29]
	v_fma_f64 v[6:7], v[48:49], v[6:7], -v[30:31]
	;; [unrolled: 2-line block ×6, first 2 shown]
	v_add_f64 v[24:25], v[0:1], v[8:9]
	v_add_f64 v[26:27], v[2:3], v[10:11]
	;; [unrolled: 1-line block ×4, first 2 shown]
	v_add_f64 v[4:5], v[4:5], -v[12:13]
	v_add_f64 v[6:7], v[6:7], -v[14:15]
	v_add_f64 v[12:13], v[16:17], v[20:21]
	v_add_f64 v[14:15], v[18:19], v[22:23]
	v_add_f64 v[16:17], v[20:21], -v[16:17]
	v_add_f64 v[18:19], v[22:23], -v[18:19]
	;; [unrolled: 1-line block ×4, first 2 shown]
	v_add_f64 v[0:1], v[28:29], v[24:25]
	v_add_f64 v[2:3], v[30:31], v[26:27]
	v_add_f64 v[20:21], v[24:25], -v[12:13]
	v_add_f64 v[22:23], v[26:27], -v[14:15]
	;; [unrolled: 1-line block ×6, first 2 shown]
	v_add_f64 v[4:5], v[16:17], v[4:5]
	v_add_f64 v[6:7], v[18:19], v[6:7]
	v_add_f64 v[16:17], v[8:9], -v[16:17]
	v_add_f64 v[18:19], v[10:11], -v[18:19]
	;; [unrolled: 1-line block ×4, first 2 shown]
	v_add_f64 v[40:41], v[12:13], v[0:1]
	v_add_f64 v[42:43], v[14:15], v[2:3]
	v_add_f64 v[12:13], v[12:13], -v[28:29]
	v_add_f64 v[14:15], v[14:15], -v[30:31]
	ds_load_b128 v[0:3], v236
	v_mul_f64 v[20:21], v[20:21], s[2:3]
	v_mul_f64 v[22:23], v[22:23], s[2:3]
	v_mul_f64 v[32:33], v[32:33], s[8:9]
	v_mul_f64 v[34:35], v[34:35], s[8:9]
	v_mul_f64 v[44:45], v[36:37], s[0:1]
	v_mul_f64 v[46:47], v[38:39], s[0:1]
	v_add_f64 v[4:5], v[4:5], v[8:9]
	v_add_f64 v[6:7], v[6:7], v[10:11]
	s_waitcnt lgkmcnt(0)
	s_barrier
	buffer_gl0_inv
	v_add_f64 v[0:1], v[0:1], v[40:41]
	v_add_f64 v[2:3], v[2:3], v[42:43]
	v_mul_f64 v[28:29], v[12:13], s[10:11]
	v_mul_f64 v[30:31], v[14:15], s[10:11]
	v_fma_f64 v[8:9], v[12:13], s[10:11], v[20:21]
	v_fma_f64 v[10:11], v[14:15], s[10:11], v[22:23]
	;; [unrolled: 1-line block ×4, first 2 shown]
	v_fma_f64 v[32:33], v[36:37], s[0:1], -v[32:33]
	v_fma_f64 v[34:35], v[38:39], s[0:1], -v[34:35]
	;; [unrolled: 1-line block ×6, first 2 shown]
	v_fma_f64 v[36:37], v[40:41], s[16:17], v[0:1]
	v_fma_f64 v[38:39], v[42:43], s[16:17], v[2:3]
	v_fma_f64 v[24:25], v[24:25], s[18:19], -v[28:29]
	v_fma_f64 v[26:27], v[26:27], s[18:19], -v[30:31]
	v_fma_f64 v[28:29], v[4:5], s[26:27], v[12:13]
	v_fma_f64 v[30:31], v[6:7], s[26:27], v[14:15]
	;; [unrolled: 1-line block ×6, first 2 shown]
	v_add_f64 v[44:45], v[8:9], v[36:37]
	v_add_f64 v[46:47], v[10:11], v[38:39]
	;; [unrolled: 1-line block ×7, first 2 shown]
	v_add_f64 v[6:7], v[46:47], -v[28:29]
	v_add_f64 v[8:9], v[42:43], v[20:21]
	v_add_f64 v[10:11], v[22:23], -v[40:41]
	v_add_f64 v[12:13], v[16:17], -v[34:35]
	v_add_f64 v[14:15], v[32:33], v[18:19]
	v_add_f64 v[16:17], v[34:35], v[16:17]
	v_add_f64 v[18:19], v[18:19], -v[32:33]
	v_add_f64 v[20:21], v[20:21], -v[42:43]
	v_add_f64 v[22:23], v[40:41], v[22:23]
	v_add_f64 v[24:25], v[44:45], -v[30:31]
	v_add_f64 v[26:27], v[28:29], v[46:47]
	ds_store_b128 v237, v[0:3]
	ds_store_b128 v237, v[4:7] offset:272
	ds_store_b128 v237, v[8:11] offset:544
	;; [unrolled: 1-line block ×6, first 2 shown]
	s_waitcnt lgkmcnt(0)
	s_barrier
	buffer_gl0_inv
	ds_load_b128 v[0:3], v236 offset:1904
	ds_load_b128 v[4:7], v236 offset:3808
	;; [unrolled: 1-line block ×6, first 2 shown]
	s_waitcnt lgkmcnt(5)
	v_mul_f64 v[24:25], v[70:71], v[2:3]
	v_mul_f64 v[26:27], v[70:71], v[0:1]
	s_waitcnt lgkmcnt(4)
	v_mul_f64 v[28:29], v[66:67], v[6:7]
	v_mul_f64 v[30:31], v[66:67], v[4:5]
	;; [unrolled: 3-line block ×6, first 2 shown]
	v_fma_f64 v[0:1], v[68:69], v[0:1], v[24:25]
	v_fma_f64 v[2:3], v[68:69], v[2:3], -v[26:27]
	v_fma_f64 v[4:5], v[64:65], v[4:5], v[28:29]
	v_fma_f64 v[6:7], v[64:65], v[6:7], -v[30:31]
	;; [unrolled: 2-line block ×6, first 2 shown]
	v_add_f64 v[24:25], v[0:1], v[8:9]
	v_add_f64 v[26:27], v[2:3], v[10:11]
	;; [unrolled: 1-line block ×4, first 2 shown]
	v_add_f64 v[4:5], v[4:5], -v[12:13]
	v_add_f64 v[6:7], v[6:7], -v[14:15]
	v_add_f64 v[12:13], v[16:17], v[20:21]
	v_add_f64 v[14:15], v[18:19], v[22:23]
	v_add_f64 v[16:17], v[20:21], -v[16:17]
	v_add_f64 v[18:19], v[22:23], -v[18:19]
	;; [unrolled: 1-line block ×4, first 2 shown]
	v_add_f64 v[0:1], v[28:29], v[24:25]
	v_add_f64 v[2:3], v[30:31], v[26:27]
	v_add_f64 v[20:21], v[24:25], -v[12:13]
	v_add_f64 v[22:23], v[26:27], -v[14:15]
	;; [unrolled: 1-line block ×6, first 2 shown]
	v_add_f64 v[4:5], v[16:17], v[4:5]
	v_add_f64 v[6:7], v[18:19], v[6:7]
	v_add_f64 v[16:17], v[8:9], -v[16:17]
	v_add_f64 v[18:19], v[10:11], -v[18:19]
	;; [unrolled: 1-line block ×4, first 2 shown]
	v_add_f64 v[40:41], v[12:13], v[0:1]
	v_add_f64 v[42:43], v[14:15], v[2:3]
	v_add_f64 v[12:13], v[12:13], -v[28:29]
	v_add_f64 v[14:15], v[14:15], -v[30:31]
	ds_load_b128 v[0:3], v236
	v_mul_f64 v[20:21], v[20:21], s[2:3]
	v_mul_f64 v[22:23], v[22:23], s[2:3]
	;; [unrolled: 1-line block ×6, first 2 shown]
	v_add_f64 v[4:5], v[4:5], v[8:9]
	v_add_f64 v[6:7], v[6:7], v[10:11]
	s_waitcnt lgkmcnt(0)
	v_add_f64 v[0:1], v[0:1], v[40:41]
	v_add_f64 v[2:3], v[2:3], v[42:43]
	v_mul_f64 v[28:29], v[12:13], s[10:11]
	v_mul_f64 v[30:31], v[14:15], s[10:11]
	v_fma_f64 v[8:9], v[12:13], s[10:11], v[20:21]
	v_fma_f64 v[10:11], v[14:15], s[10:11], v[22:23]
	;; [unrolled: 1-line block ×4, first 2 shown]
	v_fma_f64 v[32:33], v[36:37], s[0:1], -v[32:33]
	v_fma_f64 v[34:35], v[38:39], s[0:1], -v[34:35]
	;; [unrolled: 1-line block ×6, first 2 shown]
	v_fma_f64 v[36:37], v[40:41], s[16:17], v[0:1]
	v_fma_f64 v[38:39], v[42:43], s[16:17], v[2:3]
	v_fma_f64 v[24:25], v[24:25], s[18:19], -v[28:29]
	v_fma_f64 v[26:27], v[26:27], s[18:19], -v[30:31]
	v_fma_f64 v[28:29], v[4:5], s[26:27], v[12:13]
	v_fma_f64 v[30:31], v[6:7], s[26:27], v[14:15]
	;; [unrolled: 1-line block ×6, first 2 shown]
	v_add_f64 v[44:45], v[8:9], v[36:37]
	v_add_f64 v[46:47], v[10:11], v[38:39]
	;; [unrolled: 1-line block ×7, first 2 shown]
	v_add_f64 v[6:7], v[46:47], -v[28:29]
	v_add_f64 v[8:9], v[42:43], v[20:21]
	v_add_f64 v[10:11], v[22:23], -v[40:41]
	v_add_f64 v[12:13], v[16:17], -v[34:35]
	v_add_f64 v[14:15], v[32:33], v[18:19]
	v_add_f64 v[16:17], v[34:35], v[16:17]
	v_add_f64 v[18:19], v[18:19], -v[32:33]
	v_add_f64 v[20:21], v[20:21], -v[42:43]
	v_add_f64 v[22:23], v[40:41], v[22:23]
	v_add_f64 v[24:25], v[44:45], -v[30:31]
	v_add_f64 v[26:27], v[28:29], v[46:47]
	ds_store_b128 v236, v[0:3]
	ds_store_b128 v236, v[4:7] offset:1904
	ds_store_b128 v236, v[8:11] offset:3808
	;; [unrolled: 1-line block ×6, first 2 shown]
	s_waitcnt lgkmcnt(0)
	s_barrier
	buffer_gl0_inv
	s_and_b32 exec_lo, exec_lo, vcc_lo
	s_cbranch_execz .LBB0_15
; %bb.14:
	global_load_b128 v[0:3], v236, s[12:13]
	ds_load_b128 v[4:7], v236
	ds_load_b128 v[8:11], v236 offset:784
	ds_load_b128 v[12:15], v236 offset:12544
	s_mov_b32 s0, 0xca869b81
	s_mov_b32 s1, 0x3f53ab2d
	s_mul_i32 s2, s5, 0x310
	s_mul_hi_u32 s3, s4, 0x310
	s_delay_alu instid0(SALU_CYCLE_1) | instskip(SKIP_1) | instid1(VALU_DEP_1)
	s_add_i32 s3, s3, s2
	v_add_co_u32 v22, s2, s12, v236
	v_add_co_ci_u32_e64 v23, null, s13, 0, s2
	s_waitcnt vmcnt(0) lgkmcnt(2)
	v_mul_f64 v[16:17], v[6:7], v[2:3]
	v_mul_f64 v[2:3], v[4:5], v[2:3]
	s_delay_alu instid0(VALU_DEP_2) | instskip(NEXT) | instid1(VALU_DEP_2)
	v_fma_f64 v[4:5], v[4:5], v[0:1], v[16:17]
	v_fma_f64 v[2:3], v[0:1], v[6:7], -v[2:3]
	scratch_load_b64 v[0:1], off, off       ; 8-byte Folded Reload
	v_mad_u64_u32 v[16:17], null, s4, v217, 0
	s_mulk_i32 s4, 0x310
	v_mul_f64 v[2:3], v[2:3], s[0:1]
	s_waitcnt vmcnt(0)
	v_mov_b32_e32 v19, v0
	v_mul_f64 v[0:1], v[4:5], s[0:1]
	s_delay_alu instid0(VALU_DEP_4) | instskip(NEXT) | instid1(VALU_DEP_3)
	v_mov_b32_e32 v5, v17
	v_mad_u64_u32 v[6:7], null, s6, v19, 0
	s_delay_alu instid0(VALU_DEP_1) | instskip(NEXT) | instid1(VALU_DEP_1)
	v_mov_b32_e32 v4, v7
	v_mad_u64_u32 v[17:18], null, s7, v19, v[4:5]
	s_delay_alu instid0(VALU_DEP_3) | instskip(NEXT) | instid1(VALU_DEP_2)
	v_mad_u64_u32 v[18:19], null, s5, v217, v[5:6]
	v_mov_b32_e32 v7, v17
	s_delay_alu instid0(VALU_DEP_2) | instskip(NEXT) | instid1(VALU_DEP_2)
	v_mov_b32_e32 v17, v18
	v_lshlrev_b64 v[4:5], 4, v[6:7]
	s_delay_alu instid0(VALU_DEP_2) | instskip(NEXT) | instid1(VALU_DEP_2)
	v_lshlrev_b64 v[6:7], 4, v[16:17]
	v_add_co_u32 v4, vcc_lo, s14, v4
	s_delay_alu instid0(VALU_DEP_3) | instskip(NEXT) | instid1(VALU_DEP_2)
	v_add_co_ci_u32_e32 v5, vcc_lo, s15, v5, vcc_lo
	v_add_co_u32 v4, vcc_lo, v4, v6
	s_delay_alu instid0(VALU_DEP_2) | instskip(NEXT) | instid1(VALU_DEP_2)
	v_add_co_ci_u32_e32 v5, vcc_lo, v5, v7, vcc_lo
	v_add_co_u32 v16, vcc_lo, v4, s4
	global_store_b128 v[4:5], v[0:3], off
	global_load_b128 v[0:3], v236, s[12:13] offset:784
	v_add_co_ci_u32_e32 v17, vcc_lo, s3, v5, vcc_lo
	s_waitcnt vmcnt(0) lgkmcnt(1)
	v_mul_f64 v[6:7], v[10:11], v[2:3]
	v_mul_f64 v[2:3], v[8:9], v[2:3]
	s_delay_alu instid0(VALU_DEP_2) | instskip(NEXT) | instid1(VALU_DEP_2)
	v_fma_f64 v[6:7], v[8:9], v[0:1], v[6:7]
	v_fma_f64 v[2:3], v[0:1], v[10:11], -v[2:3]
	s_delay_alu instid0(VALU_DEP_2) | instskip(NEXT) | instid1(VALU_DEP_2)
	v_mul_f64 v[0:1], v[6:7], s[0:1]
	v_mul_f64 v[2:3], v[2:3], s[0:1]
	global_store_b128 v[16:17], v[0:3], off
	global_load_b128 v[0:3], v236, s[12:13] offset:1568
	ds_load_b128 v[4:7], v236 offset:1568
	ds_load_b128 v[8:11], v236 offset:2352
	s_waitcnt vmcnt(0) lgkmcnt(1)
	v_mul_f64 v[18:19], v[6:7], v[2:3]
	v_mul_f64 v[2:3], v[4:5], v[2:3]
	s_delay_alu instid0(VALU_DEP_2) | instskip(NEXT) | instid1(VALU_DEP_2)
	v_fma_f64 v[4:5], v[4:5], v[0:1], v[18:19]
	v_fma_f64 v[2:3], v[0:1], v[6:7], -v[2:3]
	s_delay_alu instid0(VALU_DEP_2) | instskip(NEXT) | instid1(VALU_DEP_2)
	v_mul_f64 v[0:1], v[4:5], s[0:1]
	v_mul_f64 v[2:3], v[2:3], s[0:1]
	v_add_co_u32 v4, vcc_lo, v16, s4
	v_add_co_ci_u32_e32 v5, vcc_lo, s3, v17, vcc_lo
	s_delay_alu instid0(VALU_DEP_2) | instskip(NEXT) | instid1(VALU_DEP_2)
	v_add_co_u32 v16, vcc_lo, v4, s4
	v_add_co_ci_u32_e32 v17, vcc_lo, s3, v5, vcc_lo
	global_store_b128 v[4:5], v[0:3], off
	global_load_b128 v[0:3], v236, s[12:13] offset:2352
	s_waitcnt vmcnt(0) lgkmcnt(0)
	v_mul_f64 v[6:7], v[10:11], v[2:3]
	v_mul_f64 v[2:3], v[8:9], v[2:3]
	s_delay_alu instid0(VALU_DEP_2) | instskip(NEXT) | instid1(VALU_DEP_2)
	v_fma_f64 v[6:7], v[8:9], v[0:1], v[6:7]
	v_fma_f64 v[2:3], v[0:1], v[10:11], -v[2:3]
	s_delay_alu instid0(VALU_DEP_2) | instskip(NEXT) | instid1(VALU_DEP_2)
	v_mul_f64 v[0:1], v[6:7], s[0:1]
	v_mul_f64 v[2:3], v[2:3], s[0:1]
	global_store_b128 v[16:17], v[0:3], off
	global_load_b128 v[0:3], v236, s[12:13] offset:3136
	ds_load_b128 v[4:7], v236 offset:3136
	ds_load_b128 v[8:11], v236 offset:3920
	s_waitcnt vmcnt(0) lgkmcnt(1)
	v_mul_f64 v[18:19], v[6:7], v[2:3]
	v_mul_f64 v[2:3], v[4:5], v[2:3]
	s_delay_alu instid0(VALU_DEP_2) | instskip(NEXT) | instid1(VALU_DEP_2)
	v_fma_f64 v[4:5], v[4:5], v[0:1], v[18:19]
	v_fma_f64 v[2:3], v[0:1], v[6:7], -v[2:3]
	s_delay_alu instid0(VALU_DEP_2) | instskip(NEXT) | instid1(VALU_DEP_2)
	v_mul_f64 v[0:1], v[4:5], s[0:1]
	v_mul_f64 v[2:3], v[2:3], s[0:1]
	v_add_co_u32 v4, vcc_lo, v16, s4
	v_add_co_ci_u32_e32 v5, vcc_lo, s3, v17, vcc_lo
	s_delay_alu instid0(VALU_DEP_2) | instskip(NEXT) | instid1(VALU_DEP_2)
	v_add_co_u32 v16, vcc_lo, v4, s4
	v_add_co_ci_u32_e32 v17, vcc_lo, s3, v5, vcc_lo
	v_add_co_u32 v18, vcc_lo, 0x1000, v22
	v_add_co_ci_u32_e32 v19, vcc_lo, 0, v23, vcc_lo
	global_store_b128 v[4:5], v[0:3], off
	global_load_b128 v[0:3], v236, s[12:13] offset:3920
	s_waitcnt vmcnt(0) lgkmcnt(0)
	v_mul_f64 v[6:7], v[10:11], v[2:3]
	v_mul_f64 v[2:3], v[8:9], v[2:3]
	s_delay_alu instid0(VALU_DEP_2) | instskip(NEXT) | instid1(VALU_DEP_2)
	v_fma_f64 v[6:7], v[8:9], v[0:1], v[6:7]
	v_fma_f64 v[2:3], v[0:1], v[10:11], -v[2:3]
	s_delay_alu instid0(VALU_DEP_2) | instskip(NEXT) | instid1(VALU_DEP_2)
	v_mul_f64 v[0:1], v[6:7], s[0:1]
	v_mul_f64 v[2:3], v[2:3], s[0:1]
	global_store_b128 v[16:17], v[0:3], off
	global_load_b128 v[0:3], v[18:19], off offset:608
	ds_load_b128 v[4:7], v236 offset:4704
	ds_load_b128 v[8:11], v236 offset:5488
	s_waitcnt vmcnt(0) lgkmcnt(1)
	v_mul_f64 v[20:21], v[6:7], v[2:3]
	v_mul_f64 v[2:3], v[4:5], v[2:3]
	s_delay_alu instid0(VALU_DEP_2) | instskip(NEXT) | instid1(VALU_DEP_2)
	v_fma_f64 v[4:5], v[4:5], v[0:1], v[20:21]
	v_fma_f64 v[2:3], v[0:1], v[6:7], -v[2:3]
	s_delay_alu instid0(VALU_DEP_2) | instskip(NEXT) | instid1(VALU_DEP_2)
	v_mul_f64 v[0:1], v[4:5], s[0:1]
	v_mul_f64 v[2:3], v[2:3], s[0:1]
	v_add_co_u32 v4, vcc_lo, v16, s4
	v_add_co_ci_u32_e32 v5, vcc_lo, s3, v17, vcc_lo
	s_delay_alu instid0(VALU_DEP_2) | instskip(NEXT) | instid1(VALU_DEP_2)
	v_add_co_u32 v16, vcc_lo, v4, s4
	v_add_co_ci_u32_e32 v17, vcc_lo, s3, v5, vcc_lo
	global_store_b128 v[4:5], v[0:3], off
	global_load_b128 v[0:3], v[18:19], off offset:1392
	s_waitcnt vmcnt(0) lgkmcnt(0)
	v_mul_f64 v[6:7], v[10:11], v[2:3]
	v_mul_f64 v[2:3], v[8:9], v[2:3]
	s_delay_alu instid0(VALU_DEP_2) | instskip(NEXT) | instid1(VALU_DEP_2)
	v_fma_f64 v[6:7], v[8:9], v[0:1], v[6:7]
	v_fma_f64 v[2:3], v[0:1], v[10:11], -v[2:3]
	s_delay_alu instid0(VALU_DEP_2) | instskip(NEXT) | instid1(VALU_DEP_2)
	v_mul_f64 v[0:1], v[6:7], s[0:1]
	v_mul_f64 v[2:3], v[2:3], s[0:1]
	global_store_b128 v[16:17], v[0:3], off
	global_load_b128 v[0:3], v[18:19], off offset:2176
	ds_load_b128 v[4:7], v236 offset:6272
	ds_load_b128 v[8:11], v236 offset:7056
	s_waitcnt vmcnt(0) lgkmcnt(1)
	v_mul_f64 v[20:21], v[6:7], v[2:3]
	v_mul_f64 v[2:3], v[4:5], v[2:3]
	s_delay_alu instid0(VALU_DEP_2) | instskip(NEXT) | instid1(VALU_DEP_2)
	v_fma_f64 v[4:5], v[4:5], v[0:1], v[20:21]
	v_fma_f64 v[2:3], v[0:1], v[6:7], -v[2:3]
	s_delay_alu instid0(VALU_DEP_2) | instskip(NEXT) | instid1(VALU_DEP_2)
	v_mul_f64 v[0:1], v[4:5], s[0:1]
	v_mul_f64 v[2:3], v[2:3], s[0:1]
	v_add_co_u32 v4, vcc_lo, v16, s4
	v_add_co_ci_u32_e32 v5, vcc_lo, s3, v17, vcc_lo
	s_delay_alu instid0(VALU_DEP_2) | instskip(NEXT) | instid1(VALU_DEP_2)
	v_add_co_u32 v16, vcc_lo, v4, s4
	v_add_co_ci_u32_e32 v17, vcc_lo, s3, v5, vcc_lo
	global_store_b128 v[4:5], v[0:3], off
	global_load_b128 v[0:3], v[18:19], off offset:2960
	s_waitcnt vmcnt(0) lgkmcnt(0)
	v_mul_f64 v[6:7], v[10:11], v[2:3]
	v_mul_f64 v[2:3], v[8:9], v[2:3]
	s_delay_alu instid0(VALU_DEP_2) | instskip(NEXT) | instid1(VALU_DEP_2)
	v_fma_f64 v[6:7], v[8:9], v[0:1], v[6:7]
	v_fma_f64 v[2:3], v[0:1], v[10:11], -v[2:3]
	s_delay_alu instid0(VALU_DEP_2) | instskip(NEXT) | instid1(VALU_DEP_2)
	v_mul_f64 v[0:1], v[6:7], s[0:1]
	v_mul_f64 v[2:3], v[2:3], s[0:1]
	global_store_b128 v[16:17], v[0:3], off
	global_load_b128 v[0:3], v[18:19], off offset:3744
	ds_load_b128 v[4:7], v236 offset:7840
	ds_load_b128 v[8:11], v236 offset:8624
	s_waitcnt vmcnt(0) lgkmcnt(1)
	v_mul_f64 v[18:19], v[6:7], v[2:3]
	v_mul_f64 v[2:3], v[4:5], v[2:3]
	s_delay_alu instid0(VALU_DEP_2) | instskip(NEXT) | instid1(VALU_DEP_2)
	v_fma_f64 v[4:5], v[4:5], v[0:1], v[18:19]
	v_fma_f64 v[2:3], v[0:1], v[6:7], -v[2:3]
	s_delay_alu instid0(VALU_DEP_2) | instskip(NEXT) | instid1(VALU_DEP_2)
	v_mul_f64 v[0:1], v[4:5], s[0:1]
	v_mul_f64 v[2:3], v[2:3], s[0:1]
	v_add_co_u32 v4, vcc_lo, v16, s4
	v_add_co_ci_u32_e32 v5, vcc_lo, s3, v17, vcc_lo
	v_add_co_u32 v16, vcc_lo, 0x2000, v22
	v_add_co_ci_u32_e32 v17, vcc_lo, 0, v23, vcc_lo
	s_delay_alu instid0(VALU_DEP_4) | instskip(NEXT) | instid1(VALU_DEP_4)
	v_add_co_u32 v18, vcc_lo, v4, s4
	v_add_co_ci_u32_e32 v19, vcc_lo, s3, v5, vcc_lo
	global_store_b128 v[4:5], v[0:3], off
	global_load_b128 v[0:3], v[16:17], off offset:432
	s_waitcnt vmcnt(0) lgkmcnt(0)
	v_mul_f64 v[6:7], v[10:11], v[2:3]
	v_mul_f64 v[2:3], v[8:9], v[2:3]
	s_delay_alu instid0(VALU_DEP_2) | instskip(NEXT) | instid1(VALU_DEP_2)
	v_fma_f64 v[6:7], v[8:9], v[0:1], v[6:7]
	v_fma_f64 v[2:3], v[0:1], v[10:11], -v[2:3]
	s_delay_alu instid0(VALU_DEP_2) | instskip(NEXT) | instid1(VALU_DEP_2)
	v_mul_f64 v[0:1], v[6:7], s[0:1]
	v_mul_f64 v[2:3], v[2:3], s[0:1]
	global_store_b128 v[18:19], v[0:3], off
	global_load_b128 v[0:3], v[16:17], off offset:1216
	ds_load_b128 v[4:7], v236 offset:9408
	ds_load_b128 v[8:11], v236 offset:10192
	s_waitcnt vmcnt(0) lgkmcnt(1)
	v_mul_f64 v[20:21], v[6:7], v[2:3]
	v_mul_f64 v[2:3], v[4:5], v[2:3]
	s_delay_alu instid0(VALU_DEP_2) | instskip(NEXT) | instid1(VALU_DEP_2)
	v_fma_f64 v[4:5], v[4:5], v[0:1], v[20:21]
	v_fma_f64 v[2:3], v[0:1], v[6:7], -v[2:3]
	s_delay_alu instid0(VALU_DEP_2) | instskip(NEXT) | instid1(VALU_DEP_2)
	v_mul_f64 v[0:1], v[4:5], s[0:1]
	v_mul_f64 v[2:3], v[2:3], s[0:1]
	v_add_co_u32 v4, vcc_lo, v18, s4
	v_add_co_ci_u32_e32 v5, vcc_lo, s3, v19, vcc_lo
	s_delay_alu instid0(VALU_DEP_2) | instskip(NEXT) | instid1(VALU_DEP_2)
	v_add_co_u32 v18, vcc_lo, v4, s4
	v_add_co_ci_u32_e32 v19, vcc_lo, s3, v5, vcc_lo
	global_store_b128 v[4:5], v[0:3], off
	global_load_b128 v[0:3], v[16:17], off offset:2000
	s_waitcnt vmcnt(0) lgkmcnt(0)
	v_mul_f64 v[6:7], v[10:11], v[2:3]
	v_mul_f64 v[2:3], v[8:9], v[2:3]
	s_delay_alu instid0(VALU_DEP_2) | instskip(NEXT) | instid1(VALU_DEP_2)
	v_fma_f64 v[6:7], v[8:9], v[0:1], v[6:7]
	v_fma_f64 v[2:3], v[0:1], v[10:11], -v[2:3]
	s_delay_alu instid0(VALU_DEP_2) | instskip(NEXT) | instid1(VALU_DEP_2)
	v_mul_f64 v[0:1], v[6:7], s[0:1]
	v_mul_f64 v[2:3], v[2:3], s[0:1]
	global_store_b128 v[18:19], v[0:3], off
	global_load_b128 v[0:3], v[16:17], off offset:2784
	ds_load_b128 v[4:7], v236 offset:10976
	ds_load_b128 v[8:11], v236 offset:11760
	s_waitcnt vmcnt(0) lgkmcnt(1)
	v_mul_f64 v[20:21], v[6:7], v[2:3]
	v_mul_f64 v[2:3], v[4:5], v[2:3]
	s_delay_alu instid0(VALU_DEP_2) | instskip(NEXT) | instid1(VALU_DEP_2)
	v_fma_f64 v[4:5], v[4:5], v[0:1], v[20:21]
	v_fma_f64 v[2:3], v[0:1], v[6:7], -v[2:3]
	s_delay_alu instid0(VALU_DEP_2) | instskip(NEXT) | instid1(VALU_DEP_2)
	v_mul_f64 v[0:1], v[4:5], s[0:1]
	v_mul_f64 v[2:3], v[2:3], s[0:1]
	v_add_co_u32 v4, vcc_lo, v18, s4
	v_add_co_ci_u32_e32 v5, vcc_lo, s3, v19, vcc_lo
	global_store_b128 v[4:5], v[0:3], off
	global_load_b128 v[0:3], v[16:17], off offset:3568
	v_add_co_u32 v4, vcc_lo, v4, s4
	v_add_co_ci_u32_e32 v5, vcc_lo, s3, v5, vcc_lo
	s_waitcnt vmcnt(0) lgkmcnt(0)
	v_mul_f64 v[6:7], v[10:11], v[2:3]
	v_mul_f64 v[2:3], v[8:9], v[2:3]
	s_delay_alu instid0(VALU_DEP_2) | instskip(NEXT) | instid1(VALU_DEP_2)
	v_fma_f64 v[6:7], v[8:9], v[0:1], v[6:7]
	v_fma_f64 v[2:3], v[0:1], v[10:11], -v[2:3]
	s_delay_alu instid0(VALU_DEP_2) | instskip(NEXT) | instid1(VALU_DEP_2)
	v_mul_f64 v[0:1], v[6:7], s[0:1]
	v_mul_f64 v[2:3], v[2:3], s[0:1]
	v_add_co_u32 v6, vcc_lo, 0x3000, v22
	v_add_co_ci_u32_e32 v7, vcc_lo, 0, v23, vcc_lo
	global_store_b128 v[4:5], v[0:3], off
	global_load_b128 v[0:3], v[6:7], off offset:256
	v_add_co_u32 v4, vcc_lo, v4, s4
	v_add_co_ci_u32_e32 v5, vcc_lo, s3, v5, vcc_lo
	s_waitcnt vmcnt(0)
	v_mul_f64 v[6:7], v[14:15], v[2:3]
	v_mul_f64 v[2:3], v[12:13], v[2:3]
	s_delay_alu instid0(VALU_DEP_2) | instskip(NEXT) | instid1(VALU_DEP_2)
	v_fma_f64 v[6:7], v[12:13], v[0:1], v[6:7]
	v_fma_f64 v[2:3], v[0:1], v[14:15], -v[2:3]
	s_delay_alu instid0(VALU_DEP_2) | instskip(NEXT) | instid1(VALU_DEP_2)
	v_mul_f64 v[0:1], v[6:7], s[0:1]
	v_mul_f64 v[2:3], v[2:3], s[0:1]
	global_store_b128 v[4:5], v[0:3], off
.LBB0_15:
	s_endpgm
	.section	.rodata,"a",@progbits
	.p2align	6, 0x0
	.amdhsa_kernel bluestein_single_back_len833_dim1_dp_op_CI_CI
		.amdhsa_group_segment_fixed_size 13328
		.amdhsa_private_segment_fixed_size 436
		.amdhsa_kernarg_size 104
		.amdhsa_user_sgpr_count 15
		.amdhsa_user_sgpr_dispatch_ptr 0
		.amdhsa_user_sgpr_queue_ptr 0
		.amdhsa_user_sgpr_kernarg_segment_ptr 1
		.amdhsa_user_sgpr_dispatch_id 0
		.amdhsa_user_sgpr_private_segment_size 0
		.amdhsa_wavefront_size32 1
		.amdhsa_uses_dynamic_stack 0
		.amdhsa_enable_private_segment 1
		.amdhsa_system_sgpr_workgroup_id_x 1
		.amdhsa_system_sgpr_workgroup_id_y 0
		.amdhsa_system_sgpr_workgroup_id_z 0
		.amdhsa_system_sgpr_workgroup_info 0
		.amdhsa_system_vgpr_workitem_id 0
		.amdhsa_next_free_vgpr 256
		.amdhsa_next_free_sgpr 54
		.amdhsa_reserve_vcc 1
		.amdhsa_float_round_mode_32 0
		.amdhsa_float_round_mode_16_64 0
		.amdhsa_float_denorm_mode_32 3
		.amdhsa_float_denorm_mode_16_64 3
		.amdhsa_dx10_clamp 1
		.amdhsa_ieee_mode 1
		.amdhsa_fp16_overflow 0
		.amdhsa_workgroup_processor_mode 1
		.amdhsa_memory_ordered 1
		.amdhsa_forward_progress 0
		.amdhsa_shared_vgpr_count 0
		.amdhsa_exception_fp_ieee_invalid_op 0
		.amdhsa_exception_fp_denorm_src 0
		.amdhsa_exception_fp_ieee_div_zero 0
		.amdhsa_exception_fp_ieee_overflow 0
		.amdhsa_exception_fp_ieee_underflow 0
		.amdhsa_exception_fp_ieee_inexact 0
		.amdhsa_exception_int_div_zero 0
	.end_amdhsa_kernel
	.text
.Lfunc_end0:
	.size	bluestein_single_back_len833_dim1_dp_op_CI_CI, .Lfunc_end0-bluestein_single_back_len833_dim1_dp_op_CI_CI
                                        ; -- End function
	.section	.AMDGPU.csdata,"",@progbits
; Kernel info:
; codeLenInByte = 25656
; NumSgprs: 56
; NumVgprs: 256
; ScratchSize: 436
; MemoryBound: 0
; FloatMode: 240
; IeeeMode: 1
; LDSByteSize: 13328 bytes/workgroup (compile time only)
; SGPRBlocks: 6
; VGPRBlocks: 31
; NumSGPRsForWavesPerEU: 56
; NumVGPRsForWavesPerEU: 256
; Occupancy: 5
; WaveLimiterHint : 1
; COMPUTE_PGM_RSRC2:SCRATCH_EN: 1
; COMPUTE_PGM_RSRC2:USER_SGPR: 15
; COMPUTE_PGM_RSRC2:TRAP_HANDLER: 0
; COMPUTE_PGM_RSRC2:TGID_X_EN: 1
; COMPUTE_PGM_RSRC2:TGID_Y_EN: 0
; COMPUTE_PGM_RSRC2:TGID_Z_EN: 0
; COMPUTE_PGM_RSRC2:TIDIG_COMP_CNT: 0
	.text
	.p2alignl 7, 3214868480
	.fill 96, 4, 3214868480
	.type	__hip_cuid_5734cd54d037bb36,@object ; @__hip_cuid_5734cd54d037bb36
	.section	.bss,"aw",@nobits
	.globl	__hip_cuid_5734cd54d037bb36
__hip_cuid_5734cd54d037bb36:
	.byte	0                               ; 0x0
	.size	__hip_cuid_5734cd54d037bb36, 1

	.ident	"AMD clang version 19.0.0git (https://github.com/RadeonOpenCompute/llvm-project roc-6.4.0 25133 c7fe45cf4b819c5991fe208aaa96edf142730f1d)"
	.section	".note.GNU-stack","",@progbits
	.addrsig
	.addrsig_sym __hip_cuid_5734cd54d037bb36
	.amdgpu_metadata
---
amdhsa.kernels:
  - .args:
      - .actual_access:  read_only
        .address_space:  global
        .offset:         0
        .size:           8
        .value_kind:     global_buffer
      - .actual_access:  read_only
        .address_space:  global
        .offset:         8
        .size:           8
        .value_kind:     global_buffer
      - .actual_access:  read_only
        .address_space:  global
        .offset:         16
        .size:           8
        .value_kind:     global_buffer
      - .actual_access:  read_only
        .address_space:  global
        .offset:         24
        .size:           8
        .value_kind:     global_buffer
      - .actual_access:  read_only
        .address_space:  global
        .offset:         32
        .size:           8
        .value_kind:     global_buffer
      - .offset:         40
        .size:           8
        .value_kind:     by_value
      - .address_space:  global
        .offset:         48
        .size:           8
        .value_kind:     global_buffer
      - .address_space:  global
        .offset:         56
        .size:           8
        .value_kind:     global_buffer
      - .address_space:  global
        .offset:         64
        .size:           8
        .value_kind:     global_buffer
      - .address_space:  global
        .offset:         72
        .size:           8
        .value_kind:     global_buffer
      - .offset:         80
        .size:           4
        .value_kind:     by_value
      - .address_space:  global
        .offset:         88
        .size:           8
        .value_kind:     global_buffer
      - .address_space:  global
        .offset:         96
        .size:           8
        .value_kind:     global_buffer
    .group_segment_fixed_size: 13328
    .kernarg_segment_align: 8
    .kernarg_segment_size: 104
    .language:       OpenCL C
    .language_version:
      - 2
      - 0
    .max_flat_workgroup_size: 119
    .name:           bluestein_single_back_len833_dim1_dp_op_CI_CI
    .private_segment_fixed_size: 436
    .sgpr_count:     56
    .sgpr_spill_count: 0
    .symbol:         bluestein_single_back_len833_dim1_dp_op_CI_CI.kd
    .uniform_work_group_size: 1
    .uses_dynamic_stack: false
    .vgpr_count:     256
    .vgpr_spill_count: 164
    .wavefront_size: 32
    .workgroup_processor_mode: 1
amdhsa.target:   amdgcn-amd-amdhsa--gfx1100
amdhsa.version:
  - 1
  - 2
...

	.end_amdgpu_metadata
